;; amdgpu-corpus repo=ROCm/rocFFT kind=compiled arch=gfx950 opt=O3
	.text
	.amdgcn_target "amdgcn-amd-amdhsa--gfx950"
	.amdhsa_code_object_version 6
	.protected	bluestein_single_back_len264_dim1_sp_op_CI_CI ; -- Begin function bluestein_single_back_len264_dim1_sp_op_CI_CI
	.globl	bluestein_single_back_len264_dim1_sp_op_CI_CI
	.p2align	8
	.type	bluestein_single_back_len264_dim1_sp_op_CI_CI,@function
bluestein_single_back_len264_dim1_sp_op_CI_CI: ; @bluestein_single_back_len264_dim1_sp_op_CI_CI
; %bb.0:
	s_load_dwordx4 s[16:19], s[0:1], 0x28
	v_mul_u32_u24_e32 v1, 0x7c2, v0
	v_lshrrev_b32_e32 v2, 16, v1
	v_mad_u64_u32 v[70:71], s[2:3], s2, 7, v[2:3]
	v_mov_b32_e32 v53, 0
	v_mov_b32_e32 v71, v53
	s_waitcnt lgkmcnt(0)
	v_cmp_gt_u64_e32 vcc, s[16:17], v[70:71]
	s_and_saveexec_b64 s[2:3], vcc
	s_cbranch_execz .LBB0_18
; %bb.1:
	s_load_dwordx4 s[4:7], s[0:1], 0x18
	s_load_dwordx4 s[8:11], s[0:1], 0x0
	v_mul_lo_u16_e32 v1, 33, v2
	v_sub_u16_e32 v72, v0, v1
	v_mov_b32_e32 v4, s18
	s_waitcnt lgkmcnt(0)
	s_load_dwordx4 s[12:15], s[4:5], 0x0
	v_mov_b32_e32 v5, s19
	v_mov_b32_e32 v16, 0x108
	v_lshlrev_b32_e32 v52, 3, v72
	v_mov_b32_e32 v73, v53
	s_waitcnt lgkmcnt(0)
	v_mad_u64_u32 v[0:1], s[2:3], s14, v70, 0
	v_mov_b32_e32 v2, v1
	v_mad_u64_u32 v[2:3], s[2:3], s15, v70, v[2:3]
	v_mov_b32_e32 v1, v2
	;; [unrolled: 2-line block ×4, first 2 shown]
	v_lshl_add_u64 v[0:1], v[0:1], 3, v[4:5]
	v_lshl_add_u64 v[0:1], v[2:3], 3, v[0:1]
	global_load_dwordx2 v[2:3], v[0:1], off
	v_mad_u64_u32 v[0:1], s[2:3], s12, v16, v[0:1]
	s_mul_i32 s4, s13, 0x108
	v_add_u32_e32 v1, s4, v1
	v_mad_u64_u32 v[4:5], s[2:3], s12, v16, v[0:1]
	v_add_u32_e32 v5, s4, v5
	global_load_dwordx2 v[76:77], v52, s[8:9]
	global_load_dwordx2 v[74:75], v52, s[8:9] offset:264
	global_load_dwordx2 v[6:7], v[0:1], off
	global_load_dwordx2 v[8:9], v[4:5], off
	v_mad_u64_u32 v[0:1], s[2:3], s12, v16, v[4:5]
	v_add_u32_e32 v1, s4, v1
	v_mad_u64_u32 v[4:5], s[2:3], s12, v16, v[0:1]
	v_add_u32_e32 v5, s4, v5
	global_load_dwordx2 v[66:67], v52, s[8:9] offset:528
	global_load_dwordx2 v[58:59], v52, s[8:9] offset:792
	global_load_dwordx2 v[10:11], v[4:5], off
	v_mad_u64_u32 v[4:5], s[2:3], s12, v16, v[4:5]
	global_load_dwordx2 v[0:1], v[0:1], off
	v_add_u32_e32 v5, s4, v5
	global_load_dwordx2 v[68:69], v52, s[8:9] offset:1056
	global_load_dwordx2 v[12:13], v[4:5], off
	global_load_dwordx2 v[60:61], v52, s[8:9] offset:1320
	v_mad_u64_u32 v[4:5], s[2:3], s12, v16, v[4:5]
	v_add_u32_e32 v5, s4, v5
	global_load_dwordx2 v[14:15], v[4:5], off
	global_load_dwordx2 v[64:65], v52, s[8:9] offset:1584
	v_mad_u64_u32 v[4:5], s[2:3], s12, v16, v[4:5]
	v_add_u32_e32 v5, s4, v5
	global_load_dwordx2 v[62:63], v52, s[8:9] offset:1848
	global_load_dwordx2 v[16:17], v[4:5], off
	s_mov_b32 s2, 0x24924925
	v_mul_hi_u32 v4, v70, s2
	v_sub_u32_e32 v5, v70, v4
	v_lshrrev_b32_e32 v5, 1, v5
	v_add_u32_e32 v4, v5, v4
	v_lshrrev_b32_e32 v4, 2, v4
	v_mul_lo_u32 v4, v4, 7
	v_sub_u32_e32 v4, v70, v4
	v_mul_u32_u24_e32 v4, 0x108, v4
	v_lshlrev_b32_e32 v162, 3, v4
	v_add_u32_e32 v71, v52, v162
	s_load_dwordx4 s[4:7], s[6:7], 0x0
	v_cmp_gt_u16_e32 vcc, 22, v72
	s_load_dwordx2 s[12:13], s[0:1], 0x38
	s_mov_b32 s0, 0x3f3504f3
                                        ; implicit-def: $vgpr32
	s_waitcnt vmcnt(14)
	v_mul_f32_e32 v4, v3, v77
	v_mul_f32_e32 v5, v2, v77
	v_fmac_f32_e32 v4, v2, v76
	v_fma_f32 v5, v3, v76, -v5
	s_waitcnt vmcnt(12)
	v_mul_f32_e32 v2, v7, v75
	v_mul_f32_e32 v3, v6, v75
	v_fmac_f32_e32 v2, v6, v74
	v_fma_f32 v3, v7, v74, -v3
	ds_write2_b64 v71, v[4:5], v[2:3] offset1:33
	s_waitcnt vmcnt(10)
	v_mul_f32_e32 v2, v9, v67
	v_mul_f32_e32 v3, v8, v67
	v_fmac_f32_e32 v2, v8, v66
	v_fma_f32 v3, v9, v66, -v3
	s_waitcnt vmcnt(7)
	v_mul_f32_e32 v4, v1, v59
	v_mul_f32_e32 v5, v0, v59
	v_fmac_f32_e32 v4, v0, v58
	v_fma_f32 v5, v1, v58, -v5
	ds_write2_b64 v71, v[2:3], v[4:5] offset0:66 offset1:99
	s_waitcnt vmcnt(6)
	v_mul_f32_e32 v0, v11, v69
	v_mul_f32_e32 v1, v10, v69
	s_waitcnt vmcnt(4)
	v_mul_f32_e32 v2, v13, v61
	v_mul_f32_e32 v3, v12, v61
	v_fmac_f32_e32 v0, v10, v68
	v_fma_f32 v1, v11, v68, -v1
	v_fmac_f32_e32 v2, v12, v60
	v_fma_f32 v3, v13, v60, -v3
	ds_write2_b64 v71, v[0:1], v[2:3] offset0:132 offset1:165
	s_waitcnt vmcnt(2)
	v_mul_f32_e32 v0, v15, v65
	v_mul_f32_e32 v1, v14, v65
	s_waitcnt vmcnt(0)
	v_mul_f32_e32 v2, v17, v63
	v_mul_f32_e32 v3, v16, v63
	v_fmac_f32_e32 v0, v14, v64
	v_fma_f32 v1, v15, v64, -v1
	v_fmac_f32_e32 v2, v16, v62
	v_fma_f32 v3, v17, v62, -v3
	ds_write2_b64 v71, v[0:1], v[2:3] offset0:198 offset1:231
	s_waitcnt lgkmcnt(0)
	s_barrier
	ds_read2_b64 v[0:3], v71 offset1:33
	ds_read2_b64 v[4:7], v71 offset0:132 offset1:165
	ds_read2_b64 v[8:11], v71 offset0:66 offset1:99
	;; [unrolled: 1-line block ×3, first 2 shown]
	s_waitcnt lgkmcnt(0)
	s_barrier
	v_pk_add_f32 v[16:17], v[0:1], v[4:5] neg_lo:[0,1] neg_hi:[0,1]
	v_pk_add_f32 v[6:7], v[2:3], v[6:7] neg_lo:[0,1] neg_hi:[0,1]
	;; [unrolled: 1-line block ×4, first 2 shown]
	v_pk_add_f32 v[18:19], v[16:17], v[4:5] op_sel:[0,1] op_sel_hi:[1,0]
	v_pk_add_f32 v[20:21], v[16:17], v[4:5] op_sel:[0,1] op_sel_hi:[1,0] neg_lo:[0,1] neg_hi:[0,1]
	v_pk_fma_f32 v[8:9], v[8:9], 2.0, v[4:5] op_sel_hi:[1,0,1] neg_lo:[0,0,1] neg_hi:[0,0,1]
	v_mov_b32_e32 v21, v19
	v_pk_add_f32 v[4:5], v[6:7], v[14:15] op_sel:[0,1] op_sel_hi:[1,0]
	v_pk_add_f32 v[18:19], v[6:7], v[14:15] op_sel:[0,1] op_sel_hi:[1,0] neg_lo:[0,1] neg_hi:[0,1]
	v_pk_fma_f32 v[0:1], v[0:1], 2.0, v[16:17] op_sel_hi:[1,0,1] neg_lo:[0,0,1] neg_hi:[0,0,1]
	v_mov_b32_e32 v19, v5
	v_pk_fma_f32 v[2:3], v[2:3], 2.0, v[6:7] op_sel_hi:[1,0,1] neg_lo:[0,0,1] neg_hi:[0,0,1]
	v_pk_fma_f32 v[10:11], v[10:11], 2.0, v[14:15] op_sel_hi:[1,0,1] neg_lo:[0,0,1] neg_hi:[0,0,1]
	v_pk_mul_f32 v[4:5], v[18:19], s[0:1] op_sel_hi:[1,0]
	v_pk_fma_f32 v[14:15], v[18:19], s[0:1], v[20:21] op_sel_hi:[1,0,1]
	v_pk_add_f32 v[8:9], v[0:1], v[8:9] neg_lo:[0,1] neg_hi:[0,1]
	v_pk_add_f32 v[10:11], v[2:3], v[10:11] neg_lo:[0,1] neg_hi:[0,1]
	v_pk_add_f32 v[30:31], v[14:15], v[4:5] op_sel:[0,1] op_sel_hi:[1,0]
	v_pk_add_f32 v[14:15], v[14:15], v[4:5] op_sel:[0,1] op_sel_hi:[1,0] neg_lo:[0,1] neg_hi:[0,1]
	v_lshlrev_b16_e32 v4, 3, v72
	v_pk_add_f32 v[12:13], v[8:9], v[10:11] op_sel:[0,1] op_sel_hi:[1,0] neg_lo:[0,1] neg_hi:[0,1]
	v_pk_add_f32 v[28:29], v[8:9], v[10:11] op_sel:[0,1] op_sel_hi:[1,0]
	v_lshl_add_u32 v163, v4, 3, v162
	v_pk_fma_f32 v[4:5], v[0:1], 2.0, v[8:9] op_sel_hi:[1,0,1] neg_lo:[0,0,1] neg_hi:[0,0,1]
	v_pk_fma_f32 v[0:1], v[2:3], 2.0, v[10:11] op_sel_hi:[1,0,1] neg_lo:[0,0,1] neg_hi:[0,0,1]
	;; [unrolled: 1-line block ×4, first 2 shown]
	v_pk_add_f32 v[0:1], v[4:5], v[0:1] neg_lo:[0,1] neg_hi:[0,1]
	v_pk_mul_f32 v[6:7], v[2:3], s[0:1] op_sel_hi:[1,0]
	v_pk_fma_f32 v[16:17], v[2:3], s[0:1], v[10:11] op_sel_hi:[1,0,1] neg_lo:[1,0,0] neg_hi:[1,0,0]
	v_mov_b32_e32 v13, v29
	v_pk_add_f32 v[2:3], v[16:17], v[6:7] op_sel:[0,1] op_sel_hi:[1,0] neg_lo:[0,1] neg_hi:[0,1]
	v_pk_add_f32 v[16:17], v[16:17], v[6:7] op_sel:[0,1] op_sel_hi:[1,0]
	v_mov_b32_e32 v15, v31
	v_mov_b32_e32 v3, v17
	v_pk_fma_f32 v[4:5], v[4:5], 2.0, v[0:1] op_sel_hi:[1,0,1] neg_lo:[0,0,1] neg_hi:[0,0,1]
	v_pk_fma_f32 v[6:7], v[10:11], 2.0, v[2:3] op_sel_hi:[1,0,1] neg_lo:[0,0,1] neg_hi:[0,0,1]
	ds_write_b128 v163, v[4:7]
	v_pk_fma_f32 v[4:5], v[8:9], 2.0, v[12:13] op_sel_hi:[1,0,1] neg_lo:[0,0,1] neg_hi:[0,0,1]
	v_pk_fma_f32 v[6:7], v[20:21], 2.0, v[14:15] op_sel_hi:[1,0,1] neg_lo:[0,0,1] neg_hi:[0,0,1]
	ds_write_b128 v163, v[4:7] offset:16
	ds_write_b128 v163, v[0:3] offset:32
	;; [unrolled: 1-line block ×3, first 2 shown]
	s_waitcnt lgkmcnt(0)
	s_barrier
	ds_read2_b64 v[16:19], v71 offset1:33
	ds_read2_b64 v[24:27], v71 offset0:88 offset1:121
	ds_read2_b64 v[20:23], v71 offset0:176 offset1:209
	v_mov_b32_e32 v28, v31
                                        ; implicit-def: $vgpr30
	s_and_saveexec_b64 s[0:1], vcc
	s_cbranch_execz .LBB0_3
; %bb.2:
	ds_read2_b64 v[12:15], v71 offset0:66 offset1:154
	ds_read_b64 v[30:31], v71 offset:1936
	s_waitcnt lgkmcnt(1)
	v_mov_b32_e32 v28, v15
	s_waitcnt lgkmcnt(0)
	v_mov_b32_e32 v32, v31
.LBB0_3:
	s_or_b64 exec, exec, s[0:1]
	v_and_b32_e32 v15, 7, v72
	v_lshlrev_b32_e32 v0, 4, v15
	v_add_u32_e32 v29, 33, v72
	s_mov_b64 s[0:1], 0x42
	global_load_dwordx4 v[8:11], v0, s[10:11]
	v_and_b32_e32 v31, 7, v29
	v_lshl_add_u64 v[34:35], v[72:73], 0, s[0:1]
	v_lshlrev_b32_e32 v0, 4, v31
	v_and_b32_e32 v73, 7, v34
	global_load_dwordx4 v[4:7], v0, s[10:11]
	v_lshlrev_b32_e32 v0, 4, v73
	global_load_dwordx4 v[0:3], v0, s[10:11]
	v_lshrrev_b32_e32 v33, 3, v72
	v_mul_u32_u24_e32 v33, 24, v33
	v_lshrrev_b32_e32 v29, 3, v29
	v_or_b32_e32 v15, v33, v15
	v_mul_u32_u24_e32 v29, 24, v29
	v_lshl_add_u32 v165, v15, 3, v162
	v_or_b32_e32 v15, v29, v31
	v_lshl_add_u32 v164, v15, 3, v162
	s_mov_b32 s0, 0x3f5db3d7
	v_lshrrev_b32_e32 v166, 3, v34
	s_waitcnt lgkmcnt(0)
	s_barrier
	s_waitcnt vmcnt(2)
	v_pk_mul_f32 v[36:37], v[24:25], v[8:9] op_sel:[0,1]
	v_mov_b32_e32 v38, v11
	v_pk_fma_f32 v[40:41], v[24:25], v[8:9], v[36:37] op_sel:[0,0,1] op_sel_hi:[1,1,0] neg_lo:[0,0,1] neg_hi:[0,0,1]
	v_pk_fma_f32 v[24:25], v[24:25], v[8:9], v[36:37] op_sel:[0,0,1] op_sel_hi:[1,0,0]
	v_pk_mul_f32 v[36:37], v[20:21], v[38:39] op_sel_hi:[1,0]
	s_waitcnt vmcnt(1)
	v_pk_mul_f32 v[38:39], v[26:27], v[4:5] op_sel_hi:[1,0]
	v_pk_mul_f32 v[42:43], v[22:23], v[6:7] op_sel_hi:[1,0]
	v_mov_b32_e32 v24, v7
	v_mov_b32_e32 v41, v25
	v_pk_fma_f32 v[44:45], v[20:21], v[10:11], v[36:37] op_sel:[0,0,1] op_sel_hi:[1,1,0] neg_lo:[0,0,1] neg_hi:[0,0,1]
	v_pk_fma_f32 v[20:21], v[20:21], v[10:11], v[36:37] op_sel:[0,0,1] op_sel_hi:[1,0,0]
	v_pk_fma_f32 v[36:37], v[26:27], v[4:5], v[38:39] op_sel:[0,0,1] op_sel_hi:[1,1,0] neg_lo:[1,0,0] neg_hi:[1,0,0]
	v_pk_fma_f32 v[26:27], v[26:27], v[4:5], v[38:39] op_sel:[0,1,1] op_sel_hi:[1,1,0]
	v_pk_fma_f32 v[38:39], v[22:23], v[6:7], v[42:43] op_sel:[0,0,1] op_sel_hi:[1,1,0] neg_lo:[1,0,0] neg_hi:[1,0,0]
	v_pk_fma_f32 v[22:23], v[22:23], v[24:25], v[42:43] op_sel:[0,0,1] op_sel_hi:[1,0,0]
	s_waitcnt vmcnt(0)
	v_pk_mul_f32 v[14:15], v[14:15], v[0:1] op_sel_hi:[0,1]
	v_pk_mul_f32 v[24:25], v[30:31], v[2:3] op_sel_hi:[0,1]
	v_mov_b32_e32 v45, v21
	v_pk_add_f32 v[20:21], v[16:17], v[40:41]
	v_mov_b32_e32 v27, v37
	v_mov_b32_e32 v23, v39
	;; [unrolled: 1-line block ×6, first 2 shown]
	v_pk_fma_f32 v[42:43], v[28:29], v[0:1], v[14:15] op_sel:[0,0,1] op_sel_hi:[0,1,0]
	v_pk_fma_f32 v[14:15], v[28:29], v[0:1], v[14:15] op_sel:[0,0,1] op_sel_hi:[0,1,0] neg_lo:[1,0,0] neg_hi:[1,0,0]
	v_pk_fma_f32 v[28:29], v[32:33], v[2:3], v[24:25] op_sel:[0,0,1] op_sel_hi:[0,1,0]
	v_pk_fma_f32 v[24:25], v[32:33], v[2:3], v[24:25] op_sel:[0,0,1] op_sel_hi:[0,1,0] neg_lo:[1,0,0] neg_hi:[1,0,0]
	v_pk_add_f32 v[32:33], v[20:21], v[44:45]
	v_pk_add_f32 v[20:21], v[40:41], v[44:45]
	v_pk_add_f32 v[38:39], v[40:41], v[44:45] neg_lo:[0,1] neg_hi:[0,1]
	v_pk_add_f32 v[40:41], v[30:31], v[36:37]
	v_pk_add_f32 v[22:23], v[26:27], v[22:23] neg_lo:[0,1] neg_hi:[0,1]
	v_pk_add_f32 v[26:27], v[18:19], v[30:31]
	v_mov_b32_e32 v43, v15
	v_mov_b32_e32 v29, v25
	;; [unrolled: 1-line block ×6, first 2 shown]
	v_pk_fma_f32 v[16:17], v[20:21], 0.5, v[16:17] op_sel_hi:[1,0,1] neg_lo:[1,0,0] neg_hi:[1,0,0]
	v_pk_mul_f32 v[20:21], v[38:39], s[0:1] op_sel_hi:[1,0]
	v_pk_fma_f32 v[18:19], v[40:41], 0.5, v[18:19] op_sel_hi:[1,0,1] neg_lo:[1,0,0] neg_hi:[1,0,0]
	v_pk_add_f32 v[38:39], v[26:27], v[36:37]
	v_pk_add_f32 v[26:27], v[14:15], v[24:25]
	v_pk_add_f32 v[28:29], v[42:43], v[28:29] neg_lo:[0,1] neg_hi:[0,1]
	v_pk_add_f32 v[14:15], v[12:13], v[14:15]
	v_pk_add_f32 v[36:37], v[16:17], v[20:21] op_sel:[0,1] op_sel_hi:[1,0] neg_lo:[0,1] neg_hi:[0,1]
	v_pk_add_f32 v[78:79], v[20:21], v[16:17] op_sel:[1,0] op_sel_hi:[0,1]
	v_pk_fma_f32 v[50:51], v[22:23], s[0:1], v[18:19] op_sel_hi:[1,0,1] neg_lo:[1,0,0] neg_hi:[1,0,0]
	v_pk_fma_f32 v[56:57], v[22:23], s[0:1], v[18:19] op_sel_hi:[1,0,1]
	v_pk_fma_f32 v[12:13], v[26:27], 0.5, v[12:13] op_sel_hi:[1,0,1] neg_lo:[1,0,0] neg_hi:[1,0,0]
	v_pk_add_f32 v[40:41], v[14:15], v[24:25]
	v_pk_fma_f32 v[44:45], v[28:29], s[0:1], v[12:13] op_sel_hi:[1,0,1] neg_lo:[1,0,0] neg_hi:[1,0,0]
	v_pk_fma_f32 v[54:55], v[28:29], s[0:1], v[12:13] op_sel_hi:[1,0,1]
	v_mov_b32_e32 v12, v78
	v_mov_b32_e32 v13, v37
	;; [unrolled: 1-line block ×8, first 2 shown]
	ds_write2_b64 v165, v[32:33], v[12:13] offset1:8
	ds_write_b64 v165, v[14:15] offset:128
	ds_write2_b64 v164, v[38:39], v[16:17] offset1:8
	ds_write_b64 v164, v[18:19] offset:128
	s_and_saveexec_b64 s[0:1], vcc
	s_cbranch_execz .LBB0_5
; %bb.4:
	v_mul_u32_u24_e32 v12, 24, v166
	v_or_b32_e32 v12, v12, v73
	v_lshl_add_u32 v14, v12, 3, v162
	v_mov_b32_e32 v12, v54
	v_mov_b32_e32 v13, v45
	ds_write2_b64 v14, v[40:41], v[12:13] offset1:8
	v_mov_b32_e32 v12, v44
	v_mov_b32_e32 v13, v55
	ds_write_b64 v14, v[12:13] offset:128
.LBB0_5:
	s_or_b64 exec, exec, s[0:1]
	v_cmp_gt_u16_e64 s[0:1], 24, v72
	v_cmp_lt_u16_e64 s[2:3], 23, v72
	s_waitcnt lgkmcnt(0)
	s_barrier
	s_and_saveexec_b64 s[14:15], s[2:3]
	s_xor_b64 s[14:15], exec, s[14:15]
	s_or_saveexec_b64 s[14:15], s[14:15]
                                        ; implicit-def: $vgpr34
                                        ; implicit-def: $vgpr80
                                        ; implicit-def: $vgpr42
	s_xor_b64 exec, exec, s[14:15]
	s_cbranch_execz .LBB0_7
; %bb.6:
	ds_read2_b64 v[32:35], v71 offset1:24
	ds_read2_b64 v[40:43], v71 offset0:144 offset1:168
	ds_read2_b64 v[44:47], v71 offset0:192 offset1:216
	ds_read2_b64 v[48:51], v71 offset0:96 offset1:120
	ds_read2_b64 v[36:39], v71 offset0:48 offset1:72
	ds_read_b64 v[80:81], v71 offset:1920
	s_waitcnt lgkmcnt(4)
	v_mov_b32_e32 v54, v42
	s_waitcnt lgkmcnt(3)
	v_mov_b32_e32 v55, v45
	;; [unrolled: 2-line block ×3, first 2 shown]
	v_mov_b32_e32 v57, v51
	v_mov_b32_e32 v78, v34
	s_waitcnt lgkmcnt(1)
	v_mov_b32_e32 v79, v37
	v_mov_b32_e32 v45, v43
	;; [unrolled: 1-line block ×5, first 2 shown]
	s_waitcnt lgkmcnt(0)
	v_mov_b32_e32 v42, v81
.LBB0_7:
	s_or_b64 exec, exec, s[14:15]
	v_subrev_u32_e32 v12, 24, v72
	v_cndmask_b32_e64 v12, v12, v72, s[0:1]
	v_mul_hi_i32_i24_e32 v13, 0x50, v12
	v_mul_i32_i24_e32 v12, 0x50, v12
	v_lshl_add_u64 v[48:49], s[10:11], 0, v[12:13]
	global_load_dwordx4 v[12:15], v[48:49], off offset:128
	global_load_dwordx4 v[20:23], v[48:49], off offset:144
	;; [unrolled: 1-line block ×5, first 2 shown]
	s_mov_b32 s28, 0xbf68dda4
	s_mov_b32 s10, 0x3ed4b147
	;; [unrolled: 1-line block ×13, first 2 shown]
	s_waitcnt vmcnt(4)
	v_pk_mul_f32 v[48:49], v[36:37], v[12:13] op_sel:[1,0]
	v_pk_mul_f32 v[84:85], v[78:79], v[14:15] op_sel:[1,0]
	s_waitcnt vmcnt(3)
	v_pk_mul_f32 v[88:89], v[38:39], v[20:21] op_sel:[1,0]
	v_pk_mul_f32 v[96:97], v[50:51], v[22:23] op_sel:[1,0]
	;; [unrolled: 3-line block ×3, first 2 shown]
	s_waitcnt vmcnt(1)
	v_pk_mul_f32 v[94:95], v[54:55], v[26:27] op_sel:[1,0]
	s_waitcnt vmcnt(0)
	v_pk_mul_f32 v[34:35], v[34:35], v[28:29] op_sel_hi:[0,1]
	v_pk_mul_f32 v[98:99], v[44:45], v[24:25] op_sel:[1,0]
	v_pk_mul_f32 v[42:43], v[42:43], v[30:31] op_sel_hi:[0,1]
	v_pk_fma_f32 v[82:83], v[36:37], v[14:15], v[84:85] op_sel:[0,0,1] op_sel_hi:[1,1,0] neg_lo:[0,0,1] neg_hi:[0,0,1]
	v_pk_fma_f32 v[36:37], v[36:37], v[14:15], v[84:85] op_sel:[0,0,1] op_sel_hi:[0,1,0]
	v_pk_fma_f32 v[86:87], v[38:39], v[20:21], v[88:89] op_sel:[0,0,1] op_sel_hi:[1,1,0] neg_lo:[0,0,1] neg_hi:[0,0,1]
	v_pk_fma_f32 v[38:39], v[38:39], v[20:21], v[88:89] op_sel:[0,0,1] op_sel_hi:[0,1,0]
	;; [unrolled: 2-line block ×10, first 2 shown]
	v_mov_b32_e32 v95, v47
	v_mov_b32_e32 v55, v43
	;; [unrolled: 1-line block ×4, first 2 shown]
	v_pk_add_f32 v[114:115], v[94:95], v[54:55] neg_lo:[0,1] neg_hi:[0,1]
	v_mov_b32_e32 v87, v39
	v_mov_b32_e32 v51, v45
	v_pk_add_f32 v[44:45], v[94:95], v[54:55]
	v_pk_add_f32 v[116:117], v[82:83], v[90:91] neg_lo:[0,1] neg_hi:[0,1]
	v_pk_mul_f32 v[34:35], v[114:115], s[28:29] op_sel:[1,0] op_sel_hi:[0,0]
	v_pk_add_f32 v[42:43], v[82:83], v[90:91]
	v_pk_add_f32 v[118:119], v[86:87], v[50:51] neg_lo:[0,1] neg_hi:[0,1]
	v_pk_mul_f32 v[38:39], v[116:117], s[18:19] op_sel:[1,0] op_sel_hi:[0,0]
	v_pk_fma_f32 v[106:107], v[44:45], s[10:11], v[34:35] op_sel_hi:[1,0,1]
	v_pk_fma_f32 v[108:109], v[44:45], s[10:11], v[34:35] op_sel_hi:[1,0,1] neg_lo:[0,0,1] neg_hi:[0,0,1]
	v_mov_b32_e32 v89, v41
	v_pk_add_f32 v[40:41], v[86:87], v[50:51]
	v_pk_mul_f32 v[46:47], v[118:119], s[30:31] op_sel:[1,0] op_sel_hi:[0,0]
	v_pk_fma_f32 v[102:103], v[42:43], s[16:17], v[38:39] op_sel_hi:[1,0,1]
	v_pk_fma_f32 v[104:105], v[42:43], s[16:17], v[38:39] op_sel_hi:[1,0,1] neg_lo:[0,0,1] neg_hi:[0,0,1]
	v_mov_b32_e32 v34, v106
	v_mov_b32_e32 v35, v109
	;; [unrolled: 1-line block ×3, first 2 shown]
	v_pk_fma_f32 v[98:99], v[40:41], s[14:15], v[46:47] op_sel_hi:[1,0,1]
	v_pk_fma_f32 v[100:101], v[40:41], s[14:15], v[46:47] op_sel_hi:[1,0,1] neg_lo:[0,0,1] neg_hi:[0,0,1]
	v_mov_b32_e32 v38, v102
	v_mov_b32_e32 v39, v105
	v_pk_add_f32 v[34:35], v[32:33], v[34:35]
	v_mov_b32_e32 v57, v79
	v_pk_mul_f32 v[78:79], v[114:115], s[26:27] op_sel:[1,0] op_sel_hi:[0,0]
	v_mov_b32_e32 v46, v98
	v_mov_b32_e32 v47, v101
	v_pk_add_f32 v[34:35], v[38:39], v[34:35]
	v_pk_fma_f32 v[110:111], v[44:45], s[22:23], v[78:79] op_sel_hi:[1,0,1]
	v_pk_fma_f32 v[112:113], v[44:45], s[22:23], v[78:79] op_sel_hi:[1,0,1] neg_lo:[0,0,1] neg_hi:[0,0,1]
	v_pk_add_f32 v[34:35], v[46:47], v[34:35]
	v_pk_mul_f32 v[46:47], v[116:117], s[28:29] op_sel:[1,0] op_sel_hi:[0,0]
	v_mov_b32_e32 v38, v110
	v_mov_b32_e32 v39, v113
	v_pk_fma_f32 v[122:123], v[42:43], s[10:11], v[46:47] op_sel_hi:[1,0,1]
	v_pk_fma_f32 v[124:125], v[42:43], s[10:11], v[46:47] op_sel_hi:[1,0,1] neg_lo:[0,0,1] neg_hi:[0,0,1]
	v_pk_add_f32 v[38:39], v[32:33], v[38:39]
	v_mov_b32_e32 v46, v122
	v_mov_b32_e32 v47, v125
	v_pk_add_f32 v[38:39], v[46:47], v[38:39]
	v_pk_mul_f32 v[46:47], v[118:119], s[36:37] op_sel:[1,0] op_sel_hi:[0,0]
	v_mov_b32_e32 v93, v49
	v_pk_fma_f32 v[126:127], v[40:41], s[20:21], v[46:47] op_sel_hi:[1,0,1]
	v_pk_fma_f32 v[128:129], v[40:41], s[20:21], v[46:47] op_sel_hi:[1,0,1] neg_lo:[0,0,1] neg_hi:[0,0,1]
	v_pk_add_f32 v[120:121], v[92:93], v[56:57] neg_lo:[0,1] neg_hi:[0,1]
	v_mov_b32_e32 v46, v126
	v_mov_b32_e32 v47, v129
	v_pk_add_f32 v[36:37], v[92:93], v[56:57]
	v_pk_mul_f32 v[48:49], v[120:121], s[24:25] op_sel:[1,0] op_sel_hi:[0,0]
	v_pk_add_f32 v[38:39], v[46:47], v[38:39]
	v_pk_mul_f32 v[46:47], v[120:121], s[18:19] op_sel:[1,0] op_sel_hi:[0,0]
	v_pk_fma_f32 v[80:81], v[36:37], s[20:21], v[48:49] op_sel_hi:[1,0,1]
	v_pk_fma_f32 v[96:97], v[36:37], s[20:21], v[48:49] op_sel_hi:[1,0,1] neg_lo:[0,0,1] neg_hi:[0,0,1]
	v_pk_fma_f32 v[130:131], v[36:37], s[16:17], v[46:47] op_sel_hi:[1,0,1]
	v_pk_fma_f32 v[132:133], v[36:37], s[16:17], v[46:47] op_sel_hi:[1,0,1] neg_lo:[0,0,1] neg_hi:[0,0,1]
	v_mov_b32_e32 v48, v80
	v_mov_b32_e32 v49, v97
	;; [unrolled: 1-line block ×4, first 2 shown]
	s_mov_b32 s28, 0xbe903f40
	v_pk_add_f32 v[156:157], v[84:85], v[88:89] neg_lo:[0,1] neg_hi:[0,1]
	v_pk_add_f32 v[34:35], v[48:49], v[34:35]
	v_pk_add_f32 v[38:39], v[46:47], v[38:39]
	;; [unrolled: 1-line block ×3, first 2 shown]
	v_pk_mul_f32 v[48:49], v[156:157], s[28:29] op_sel:[1,0] op_sel_hi:[0,0]
	v_pk_fma_f32 v[142:143], v[46:47], s[14:15], v[48:49] op_sel_hi:[1,0,1]
	v_pk_fma_f32 v[144:145], v[46:47], s[14:15], v[48:49] op_sel_hi:[1,0,1] neg_lo:[0,0,1] neg_hi:[0,0,1]
	v_mov_b32_e32 v48, v142
	v_mov_b32_e32 v49, v145
	v_pk_add_f32 v[78:79], v[48:49], v[38:39]
	v_pk_mul_f32 v[38:39], v[114:115], s[36:37] op_sel:[1,0] op_sel_hi:[0,0]
	v_pk_fma_f32 v[134:135], v[44:45], s[20:21], v[38:39] op_sel_hi:[1,0,1]
	v_pk_fma_f32 v[136:137], v[44:45], s[20:21], v[38:39] op_sel_hi:[1,0,1] neg_lo:[0,0,1] neg_hi:[0,0,1]
	v_pk_mul_f32 v[48:49], v[116:117], s[30:31] op_sel:[1,0] op_sel_hi:[0,0]
	v_mov_b32_e32 v38, v134
	v_mov_b32_e32 v39, v137
	v_pk_fma_f32 v[138:139], v[42:43], s[14:15], v[48:49] op_sel_hi:[1,0,1]
	v_pk_fma_f32 v[140:141], v[42:43], s[14:15], v[48:49] op_sel_hi:[1,0,1] neg_lo:[0,0,1] neg_hi:[0,0,1]
	v_pk_add_f32 v[38:39], v[32:33], v[38:39]
	v_mov_b32_e32 v48, v138
	v_mov_b32_e32 v49, v141
	v_pk_add_f32 v[38:39], v[48:49], v[38:39]
	v_pk_mul_f32 v[48:49], v[118:119], s[34:35] op_sel:[1,0] op_sel_hi:[0,0]
	v_pk_fma_f32 v[146:147], v[40:41], s[10:11], v[48:49] op_sel_hi:[1,0,1]
	v_pk_fma_f32 v[148:149], v[40:41], s[10:11], v[48:49] op_sel_hi:[1,0,1] neg_lo:[0,0,1] neg_hi:[0,0,1]
	v_mov_b32_e32 v48, v146
	v_mov_b32_e32 v49, v149
	v_pk_add_f32 v[38:39], v[48:49], v[38:39]
	v_pk_mul_f32 v[48:49], v[120:121], s[26:27] op_sel:[1,0] op_sel_hi:[0,0]
	v_pk_fma_f32 v[150:151], v[36:37], s[22:23], v[48:49] op_sel_hi:[1,0,1]
	v_pk_fma_f32 v[152:153], v[36:37], s[22:23], v[48:49] op_sel_hi:[1,0,1] neg_lo:[0,0,1] neg_hi:[0,0,1]
	v_mov_b32_e32 v48, v150
	v_mov_b32_e32 v49, v153
	v_pk_add_f32 v[38:39], v[48:49], v[38:39]
	v_lshl_add_u64 v[48:49], s[8:9], 0, v[52:53]
	v_pk_mul_f32 v[52:53], v[156:157], s[38:39] op_sel:[1,0] op_sel_hi:[0,0]
	v_pk_fma_f32 v[158:159], v[46:47], s[22:23], v[52:53] op_sel_hi:[1,0,1]
	v_pk_fma_f32 v[160:161], v[46:47], s[22:23], v[52:53] op_sel_hi:[1,0,1] neg_lo:[0,0,1] neg_hi:[0,0,1]
	v_mov_b32_e32 v52, v158
	v_mov_b32_e32 v53, v161
	v_pk_mul_f32 v[154:155], v[156:157], s[18:19] op_sel:[1,0] op_sel_hi:[0,0]
	v_pk_add_f32 v[34:35], v[52:53], v[34:35]
	v_pk_fma_f32 v[52:53], v[46:47], s[16:17], v[154:155] op_sel_hi:[1,0,1]
	v_pk_fma_f32 v[154:155], v[46:47], s[16:17], v[154:155] op_sel_hi:[1,0,1] neg_lo:[0,0,1] neg_hi:[0,0,1]
	v_mov_b32_e32 v168, v52
	v_mov_b32_e32 v169, v155
	v_pk_add_f32 v[38:39], v[168:169], v[38:39]
	s_and_saveexec_b64 s[30:31], s[0:1]
	s_cbranch_execz .LBB0_9
; %bb.8:
	v_pk_add_f32 v[94:95], v[32:33], v[94:95]
	v_mov_b32_e32 v113, v111
	v_pk_add_f32 v[82:83], v[94:95], v[82:83]
	v_mov_b32_e32 v109, v107
	;; [unrolled: 2-line block ×9, first 2 shown]
	v_pk_add_f32 v[50:51], v[50:51], v[54:55]
	ds_write_b64 v71, v[50:51]
	v_pk_add_f32 v[50:51], v[32:33], v[112:113]
	v_pk_add_f32 v[54:55], v[32:33], v[108:109]
	;; [unrolled: 1-line block ×6, first 2 shown]
	v_mov_b32_e32 v169, v114
	v_pk_add_f32 v[50:51], v[132:133], v[50:51]
	v_mov_b32_e32 v145, v143
	v_pk_add_f32 v[54:55], v[96:97], v[54:55]
	v_mov_b32_e32 v161, v159
	v_mov_b32_e32 v114, v117
	;; [unrolled: 1-line block ×3, first 2 shown]
	v_lshl_add_u32 v98, v72, 3, v162
	v_pk_add_f32 v[50:51], v[144:145], v[50:51]
	v_pk_add_f32 v[54:55], v[160:161], v[54:55]
	v_mov_b32_e32 v155, v53
	v_pk_mul_f32 v[52:53], v[168:169], s[28:29] op_sel_hi:[1,0]
	ds_write2_b64 v98, v[50:51], v[54:55] offset0:24 offset1:48
	v_pk_mul_f32 v[54:55], v[114:115], s[38:39] op_sel_hi:[1,0]
	v_pk_fma_f32 v[84:85], v[44:45], s[14:15], v[52:53] op_sel_hi:[1,0,1] neg_lo:[0,0,1] neg_hi:[0,0,1]
	v_pk_fma_f32 v[52:53], v[44:45], s[14:15], v[52:53] op_sel_hi:[1,0,1]
	v_mov_b32_e32 v116, v119
	v_mov_b32_e32 v117, v118
	;; [unrolled: 1-line block ×4, first 2 shown]
	v_pk_fma_f32 v[88:89], v[42:43], s[22:23], v[54:55] op_sel_hi:[1,0,1] neg_lo:[0,0,1] neg_hi:[0,0,1]
	v_pk_fma_f32 v[54:55], v[42:43], s[22:23], v[54:55] op_sel_hi:[1,0,1]
	v_pk_mul_f32 v[56:57], v[116:117], s[18:19] op_sel_hi:[1,0]
	v_pk_add_f32 v[86:87], v[32:33], v[86:87]
	v_mov_b32_e32 v90, v88
	v_mov_b32_e32 v91, v55
	;; [unrolled: 1-line block ×4, first 2 shown]
	v_pk_add_f32 v[86:87], v[90:91], v[86:87]
	v_pk_fma_f32 v[90:91], v[40:41], s[16:17], v[56:57] op_sel_hi:[1,0,1] neg_lo:[0,0,1] neg_hi:[0,0,1]
	v_pk_fma_f32 v[56:57], v[40:41], s[16:17], v[56:57] op_sel_hi:[1,0,1]
	v_pk_mul_f32 v[80:81], v[118:119], s[34:35] op_sel_hi:[1,0]
	v_mov_b32_e32 v92, v90
	v_mov_b32_e32 v93, v57
	;; [unrolled: 1-line block ×5, first 2 shown]
	v_pk_add_f32 v[86:87], v[92:93], v[86:87]
	v_pk_fma_f32 v[92:93], v[36:37], s[10:11], v[80:81] op_sel_hi:[1,0,1] neg_lo:[0,0,1] neg_hi:[0,0,1]
	v_pk_fma_f32 v[80:81], v[36:37], s[10:11], v[80:81] op_sel_hi:[1,0,1]
	v_pk_add_f32 v[52:53], v[32:33], v[52:53]
	v_mov_b32_e32 v55, v89
	v_pk_mul_f32 v[82:83], v[120:121], s[36:37] op_sel_hi:[1,0]
	v_mov_b32_e32 v94, v92
	v_mov_b32_e32 v95, v81
	v_pk_add_f32 v[52:53], v[54:55], v[52:53]
	v_mov_b32_e32 v57, v91
	v_pk_add_f32 v[86:87], v[94:95], v[86:87]
	v_pk_fma_f32 v[94:95], v[46:47], s[20:21], v[82:83] op_sel_hi:[1,0,1] neg_lo:[0,0,1] neg_hi:[0,0,1]
	v_pk_fma_f32 v[82:83], v[46:47], s[20:21], v[82:83] op_sel_hi:[1,0,1]
	v_pk_add_f32 v[52:53], v[56:57], v[52:53]
	v_mov_b32_e32 v81, v93
	v_mov_b32_e32 v96, v94
	;; [unrolled: 1-line block ×3, first 2 shown]
	v_pk_add_f32 v[52:53], v[80:81], v[52:53]
	v_mov_b32_e32 v83, v95
	v_pk_add_f32 v[86:87], v[96:97], v[86:87]
	v_pk_add_f32 v[52:53], v[82:83], v[52:53]
	ds_write2_b64 v98, v[86:87], v[52:53] offset0:120 offset1:144
	v_pk_mul_f32 v[52:53], v[168:169], s[18:19] op_sel_hi:[1,0]
	v_pk_mul_f32 v[54:55], v[114:115], s[24:25] op_sel_hi:[1,0]
	v_pk_fma_f32 v[84:85], v[44:45], s[16:17], v[52:53] op_sel_hi:[1,0,1]
	v_pk_fma_f32 v[44:45], v[44:45], s[16:17], v[52:53] op_sel_hi:[1,0,1] neg_lo:[0,0,1] neg_hi:[0,0,1]
	v_mov_b32_e32 v52, v84
	v_mov_b32_e32 v53, v45
	v_pk_fma_f32 v[86:87], v[42:43], s[20:21], v[54:55] op_sel_hi:[1,0,1]
	v_pk_fma_f32 v[42:43], v[42:43], s[20:21], v[54:55] op_sel_hi:[1,0,1] neg_lo:[0,0,1] neg_hi:[0,0,1]
	v_pk_mul_f32 v[56:57], v[116:117], s[26:27] op_sel_hi:[1,0]
	v_pk_add_f32 v[52:53], v[32:33], v[52:53]
	v_mov_b32_e32 v54, v86
	v_mov_b32_e32 v55, v43
	v_pk_add_f32 v[52:53], v[54:55], v[52:53]
	v_pk_fma_f32 v[54:55], v[40:41], s[22:23], v[56:57] op_sel_hi:[1,0,1]
	v_pk_fma_f32 v[40:41], v[40:41], s[22:23], v[56:57] op_sel_hi:[1,0,1] neg_lo:[0,0,1] neg_hi:[0,0,1]
	v_mov_b32_e32 v137, v135
	v_pk_mul_f32 v[80:81], v[118:119], s[28:29] op_sel_hi:[1,0]
	v_mov_b32_e32 v56, v54
	v_mov_b32_e32 v57, v41
	v_mov_b32_e32 v45, v85
	v_pk_add_f32 v[50:51], v[32:33], v[136:137]
	v_mov_b32_e32 v141, v139
	v_pk_add_f32 v[52:53], v[56:57], v[52:53]
	v_pk_fma_f32 v[56:57], v[36:37], s[14:15], v[80:81] op_sel_hi:[1,0,1]
	v_pk_fma_f32 v[36:37], v[36:37], s[14:15], v[80:81] op_sel_hi:[1,0,1] neg_lo:[0,0,1] neg_hi:[0,0,1]
	v_pk_add_f32 v[32:33], v[32:33], v[44:45]
	v_mov_b32_e32 v43, v87
	v_pk_add_f32 v[50:51], v[140:141], v[50:51]
	v_mov_b32_e32 v149, v147
	v_pk_mul_f32 v[82:83], v[120:121], s[34:35] op_sel_hi:[1,0]
	v_mov_b32_e32 v80, v56
	v_mov_b32_e32 v81, v37
	v_pk_add_f32 v[32:33], v[42:43], v[32:33]
	v_mov_b32_e32 v41, v55
	v_pk_add_f32 v[50:51], v[148:149], v[50:51]
	;; [unrolled: 2-line block ×3, first 2 shown]
	v_pk_fma_f32 v[80:81], v[46:47], s[10:11], v[82:83] op_sel_hi:[1,0,1]
	v_pk_fma_f32 v[46:47], v[46:47], s[10:11], v[82:83] op_sel_hi:[1,0,1] neg_lo:[0,0,1] neg_hi:[0,0,1]
	v_pk_add_f32 v[32:33], v[40:41], v[32:33]
	v_mov_b32_e32 v37, v57
	v_pk_add_f32 v[50:51], v[152:153], v[50:51]
	v_mov_b32_e32 v83, v47
	;; [unrolled: 2-line block ×4, first 2 shown]
	v_pk_add_f32 v[32:33], v[46:47], v[32:33]
	v_pk_add_f32 v[52:53], v[82:83], v[52:53]
	ds_write2_b64 v98, v[50:51], v[32:33] offset0:72 offset1:96
	ds_write2_b64 v98, v[52:53], v[38:39] offset0:168 offset1:192
	;; [unrolled: 1-line block ×3, first 2 shown]
.LBB0_9:
	s_or_b64 exec, exec, s[30:31]
	s_waitcnt lgkmcnt(0)
	s_barrier
	global_load_dwordx2 v[32:33], v[48:49], off offset:2112
	s_add_u32 s8, s8, 0x840
	s_addc_u32 s9, s9, 0
	v_lshlrev_b32_e32 v40, 3, v72
	global_load_dwordx2 v[36:37], v40, s[8:9] offset:264
	global_load_dwordx2 v[52:53], v40, s[8:9] offset:528
	;; [unrolled: 1-line block ×7, first 2 shown]
	ds_read2_b64 v[40:43], v71 offset1:33
	v_lshl_add_u32 v80, v72, 3, v162
	ds_read2_b64 v[44:47], v71 offset0:99 offset1:132
	ds_read2_b64 v[48:51], v71 offset0:165 offset1:198
	ds_read_b64 v[88:89], v80 offset:528
	ds_read_b64 v[90:91], v71 offset:1848
	s_mov_b32 s8, 0x3f3504f3
	s_waitcnt vmcnt(7) lgkmcnt(4)
	v_mul_f32_e32 v81, v41, v33
	v_mul_f32_e32 v93, v40, v33
	v_fma_f32 v92, v40, v32, -v81
	v_fmac_f32_e32 v93, v41, v32
	s_waitcnt vmcnt(6)
	v_mul_f32_e32 v32, v43, v37
	v_mul_f32_e32 v33, v42, v37
	s_waitcnt vmcnt(5) lgkmcnt(1)
	v_mul_f32_e32 v40, v89, v53
	v_mul_f32_e32 v37, v88, v53
	s_waitcnt vmcnt(4)
	v_mul_f32_e32 v81, v45, v55
	v_mul_f32_e32 v41, v44, v55
	s_waitcnt vmcnt(3)
	;; [unrolled: 3-line block ×4, first 2 shown]
	v_mul_f32_e32 v96, v51, v85
	v_mul_f32_e32 v57, v50, v85
	s_waitcnt vmcnt(0) lgkmcnt(0)
	v_mul_f32_e32 v85, v91, v87
	v_mul_f32_e32 v83, v90, v87
	v_fma_f32 v32, v42, v36, -v32
	v_fmac_f32_e32 v33, v43, v36
	v_fma_f32 v36, v88, v52, -v40
	v_fmac_f32_e32 v37, v89, v52
	v_fma_f32 v40, v44, v54, -v81
	v_fmac_f32_e32 v41, v45, v54
	v_fma_f32 v52, v46, v56, -v94
	v_fmac_f32_e32 v53, v47, v56
	v_fma_f32 v54, v48, v82, -v95
	v_fmac_f32_e32 v55, v49, v82
	v_fma_f32 v56, v50, v84, -v96
	v_fmac_f32_e32 v57, v51, v84
	v_fma_f32 v82, v90, v86, -v85
	v_fmac_f32_e32 v83, v91, v86
	ds_write2_b64 v71, v[92:93], v[32:33] offset1:33
	ds_write_b64 v80, v[36:37] offset:528
	ds_write2_b64 v71, v[40:41], v[52:53] offset0:99 offset1:132
	ds_write2_b64 v71, v[54:55], v[56:57] offset0:165 offset1:198
	ds_write_b64 v71, v[82:83] offset:1848
	s_waitcnt lgkmcnt(0)
	s_barrier
	ds_read2_b64 v[40:43], v71 offset1:33
	ds_read2_b64 v[44:47], v71 offset0:99 offset1:132
	ds_read2_b64 v[48:51], v71 offset0:165 offset1:198
	ds_read_b64 v[32:33], v80 offset:528
	ds_read_b64 v[36:37], v71 offset:1848
	s_waitcnt lgkmcnt(0)
	v_pk_add_f32 v[52:53], v[40:41], v[46:47] neg_lo:[0,1] neg_hi:[0,1]
	v_pk_add_f32 v[48:49], v[42:43], v[48:49] neg_lo:[0,1] neg_hi:[0,1]
	v_pk_add_f32 v[46:47], v[32:33], v[50:51] neg_lo:[0,1] neg_hi:[0,1]
	v_pk_add_f32 v[36:37], v[44:45], v[36:37] neg_lo:[0,1] neg_hi:[0,1]
	v_pk_fma_f32 v[40:41], v[40:41], 2.0, v[52:53] op_sel_hi:[1,0,1] neg_lo:[0,0,1] neg_hi:[0,0,1]
	v_pk_fma_f32 v[32:33], v[32:33], 2.0, v[46:47] op_sel_hi:[1,0,1] neg_lo:[0,0,1] neg_hi:[0,0,1]
	;; [unrolled: 1-line block ×4, first 2 shown]
	v_pk_add_f32 v[54:55], v[52:53], v[46:47] op_sel:[0,1] op_sel_hi:[1,0]
	v_pk_add_f32 v[44:45], v[52:53], v[46:47] op_sel:[0,1] op_sel_hi:[1,0] neg_lo:[0,1] neg_hi:[0,1]
	v_pk_add_f32 v[82:83], v[40:41], v[32:33] neg_lo:[0,1] neg_hi:[0,1]
	v_pk_add_f32 v[46:47], v[50:51], v[42:43] neg_lo:[0,1] neg_hi:[0,1]
	v_pk_add_f32 v[56:57], v[48:49], v[36:37] op_sel:[0,1] op_sel_hi:[1,0]
	v_pk_add_f32 v[36:37], v[48:49], v[36:37] op_sel:[0,1] op_sel_hi:[1,0] neg_lo:[0,1] neg_hi:[0,1]
	v_pk_add_f32 v[32:33], v[82:83], v[46:47] op_sel:[0,1] op_sel_hi:[1,0] neg_lo:[0,1] neg_hi:[0,1]
	v_pk_add_f32 v[42:43], v[82:83], v[46:47] op_sel:[0,1] op_sel_hi:[1,0]
	v_pk_fma_f32 v[40:41], v[40:41], 2.0, v[82:83] op_sel_hi:[1,0,1] neg_lo:[0,0,1] neg_hi:[0,0,1]
	v_pk_fma_f32 v[46:47], v[50:51], 2.0, v[46:47] op_sel_hi:[1,0,1] neg_lo:[0,0,1] neg_hi:[0,0,1]
	v_mov_b32_e32 v55, v45
	v_mov_b32_e32 v57, v37
	v_pk_add_f32 v[46:47], v[40:41], v[46:47] neg_lo:[0,1] neg_hi:[0,1]
	v_pk_fma_f32 v[48:49], v[48:49], 2.0, v[56:57] op_sel_hi:[1,0,1] neg_lo:[0,0,1] neg_hi:[0,0,1]
	v_pk_fma_f32 v[50:51], v[40:41], 2.0, v[46:47] op_sel_hi:[1,0,1] neg_lo:[0,0,1] neg_hi:[0,0,1]
	;; [unrolled: 1-line block ×3, first 2 shown]
	v_pk_mul_f32 v[36:37], v[56:57], s[8:9] op_sel_hi:[1,0]
	v_pk_fma_f32 v[84:85], v[56:57], s[8:9], v[54:55] op_sel_hi:[1,0,1]
	v_pk_mul_f32 v[52:53], v[48:49], s[8:9] op_sel_hi:[1,0]
	v_pk_fma_f32 v[56:57], v[48:49], s[8:9], v[40:41] op_sel_hi:[1,0,1] neg_lo:[1,0,0] neg_hi:[1,0,0]
	v_pk_add_f32 v[44:45], v[84:85], v[36:37] op_sel:[0,1] op_sel_hi:[1,0]
	v_pk_add_f32 v[48:49], v[56:57], v[52:53] op_sel:[0,1] op_sel_hi:[1,0]
	v_pk_add_f32 v[56:57], v[56:57], v[52:53] op_sel:[0,1] op_sel_hi:[1,0] neg_lo:[0,1] neg_hi:[0,1]
	v_pk_add_f32 v[36:37], v[84:85], v[36:37] op_sel:[0,1] op_sel_hi:[1,0] neg_lo:[0,1] neg_hi:[0,1]
	v_mov_b32_e32 v49, v57
	v_mov_b32_e32 v43, v33
	;; [unrolled: 1-line block ×3, first 2 shown]
	v_pk_fma_f32 v[52:53], v[40:41], 2.0, v[48:49] op_sel_hi:[1,0,1] neg_lo:[0,0,1] neg_hi:[0,0,1]
	s_barrier
	ds_write_b128 v163, v[50:53]
	v_pk_fma_f32 v[50:51], v[82:83], 2.0, v[42:43] op_sel_hi:[1,0,1] neg_lo:[0,0,1] neg_hi:[0,0,1]
	v_pk_fma_f32 v[52:53], v[54:55], 2.0, v[44:45] op_sel_hi:[1,0,1] neg_lo:[0,0,1] neg_hi:[0,0,1]
	ds_write_b128 v163, v[50:53] offset:16
	ds_write_b128 v163, v[46:49] offset:32
	;; [unrolled: 1-line block ×3, first 2 shown]
	s_waitcnt lgkmcnt(0)
	s_barrier
	ds_read2_b64 v[46:49], v71 offset1:33
	ds_read2_b64 v[54:57], v71 offset0:88 offset1:121
	ds_read2_b64 v[50:53], v71 offset0:176 offset1:209
	s_and_saveexec_b64 s[8:9], vcc
	s_cbranch_execz .LBB0_11
; %bb.10:
	ds_read_b64 v[42:43], v80 offset:528
	ds_read2_b64 v[36:39], v71 offset0:154 offset1:242
	s_waitcnt lgkmcnt(1)
	v_mov_b32_e32 v33, v43
	s_waitcnt lgkmcnt(0)
	v_mov_b32_e32 v44, v36
.LBB0_11:
	s_or_b64 exec, exec, s[8:9]
	v_mov_b32_e32 v43, v33
	s_waitcnt lgkmcnt(1)
	v_pk_mul_f32 v[32:33], v[8:9], v[54:55] op_sel_hi:[1,0]
	v_mov_b32_e32 v36, v55
	s_waitcnt lgkmcnt(0)
	v_pk_mul_f32 v[40:41], v[10:11], v[50:51] op_sel_hi:[1,0]
	v_mov_b32_e32 v82, v51
	v_mov_b32_e32 v45, v37
	;; [unrolled: 1-line block ×3, first 2 shown]
	v_pk_fma_f32 v[36:37], v[8:9], v[36:37], v[32:33] op_sel:[0,0,1] op_sel_hi:[1,1,0] neg_lo:[0,0,1] neg_hi:[0,0,1]
	v_pk_fma_f32 v[8:9], v[8:9], v[54:55], v[32:33] op_sel:[0,1,1] op_sel_hi:[1,1,0]
	v_pk_fma_f32 v[32:33], v[10:11], v[82:83], v[40:41] op_sel:[0,0,1] op_sel_hi:[1,1,0] neg_lo:[0,0,1] neg_hi:[0,0,1]
	v_pk_fma_f32 v[10:11], v[10:11], v[50:51], v[40:41] op_sel:[0,1,1] op_sel_hi:[1,1,0]
	v_mov_b32_e32 v37, v9
	v_mov_b32_e32 v33, v11
	;; [unrolled: 1-line block ×6, first 2 shown]
	v_pk_add_f32 v[40:41], v[8:9], v[10:11]
	v_pk_mul_f32 v[84:85], v[4:5], v[56:57] op_sel_hi:[1,0]
	v_mov_b32_e32 v86, v57
	v_pk_mul_f32 v[88:89], v[6:7], v[52:53] op_sel_hi:[1,0]
	v_mov_b32_e32 v90, v53
	v_pk_fma_f32 v[40:41], v[40:41], 0.5, v[46:47] op_sel_hi:[1,0,1] neg_lo:[1,0,0] neg_hi:[1,0,0]
	v_pk_add_f32 v[32:33], v[36:37], v[32:33] neg_lo:[0,1] neg_hi:[0,1]
	s_mov_b32 s8, 0x3f5db3d7
	v_pk_add_f32 v[8:9], v[46:47], v[8:9]
	v_pk_fma_f32 v[46:47], v[32:33], s[8:9], v[40:41] op_sel_hi:[1,0,1]
	v_pk_add_f32 v[8:9], v[8:9], v[10:11]
	v_pk_fma_f32 v[10:11], v[32:33], s[8:9], v[40:41] op_sel_hi:[1,0,1] neg_lo:[1,0,0] neg_hi:[1,0,0]
	v_pk_fma_f32 v[32:33], v[4:5], v[86:87], v[84:85] op_sel:[0,0,1] op_sel_hi:[1,1,0] neg_lo:[0,0,1] neg_hi:[0,0,1]
	v_pk_fma_f32 v[4:5], v[4:5], v[56:57], v[84:85] op_sel:[0,1,1] op_sel_hi:[1,1,0]
	v_pk_fma_f32 v[36:37], v[6:7], v[90:91], v[88:89] op_sel:[0,0,1] op_sel_hi:[1,1,0] neg_lo:[0,0,1] neg_hi:[0,0,1]
	v_pk_fma_f32 v[6:7], v[6:7], v[52:53], v[88:89] op_sel:[0,1,1] op_sel_hi:[1,1,0]
	v_mov_b32_e32 v33, v5
	v_mov_b32_e32 v37, v7
	;; [unrolled: 1-line block ×6, first 2 shown]
	v_pk_add_f32 v[40:41], v[4:5], v[6:7]
	v_pk_mul_f32 v[92:93], v[0:1], v[44:45] op_sel_hi:[1,0]
	v_pk_mul_f32 v[96:97], v[2:3], v[38:39] op_sel_hi:[1,0]
	v_pk_fma_f32 v[50:51], v[40:41], 0.5, v[48:49] op_sel_hi:[1,0,1] neg_lo:[1,0,0] neg_hi:[1,0,0]
	v_pk_add_f32 v[32:33], v[32:33], v[36:37] neg_lo:[0,1] neg_hi:[0,1]
	v_pk_add_f32 v[4:5], v[48:49], v[4:5]
	v_pk_fma_f32 v[36:37], v[32:33], s[8:9], v[50:51] op_sel_hi:[1,0,1]
	v_pk_add_f32 v[40:41], v[4:5], v[6:7]
	v_pk_fma_f32 v[4:5], v[32:33], s[8:9], v[50:51] op_sel_hi:[1,0,1] neg_lo:[1,0,0] neg_hi:[1,0,0]
	v_pk_fma_f32 v[6:7], v[0:1], v[44:45], v[92:93] op_sel:[0,0,1] op_sel_hi:[1,1,0]
	v_pk_fma_f32 v[0:1], v[0:1], v[94:95], v[92:93] op_sel:[0,0,1] op_sel_hi:[1,0,0] neg_lo:[0,0,1] neg_hi:[0,0,1]
	v_pk_fma_f32 v[32:33], v[2:3], v[38:39], v[96:97] op_sel:[0,0,1] op_sel_hi:[1,1,0]
	v_pk_fma_f32 v[2:3], v[2:3], v[38:39], v[96:97] op_sel:[0,1,1] op_sel_hi:[1,1,0] neg_lo:[0,0,1] neg_hi:[0,0,1]
	v_mov_b32_e32 v1, v7
	v_mov_b32_e32 v3, v33
	v_mov_b32_e32 v6, v7
	v_mov_b32_e32 v7, v0
	v_mov_b32_e32 v32, v33
	v_mov_b32_e32 v33, v2
	v_pk_add_f32 v[38:39], v[6:7], v[32:33]
	v_pk_add_f32 v[2:3], v[0:1], v[2:3] neg_lo:[0,1] neg_hi:[0,1]
	v_pk_add_f32 v[0:1], v[6:7], v[42:43]
	v_mov_b32_e32 v6, v10
	v_mov_b32_e32 v7, v47
	s_barrier
	ds_write2_b64 v165, v[8:9], v[6:7] offset1:8
	v_mov_b32_e32 v6, v46
	v_mov_b32_e32 v7, v11
	v_pk_fma_f32 v[38:39], v[38:39], 0.5, v[42:43] op_sel_hi:[1,0,1] neg_lo:[1,0,0] neg_hi:[1,0,0]
	ds_write_b64 v165, v[6:7] offset:128
	v_mov_b32_e32 v6, v4
	v_mov_b32_e32 v7, v37
	v_pk_add_f32 v[0:1], v[0:1], v[32:33]
	v_pk_fma_f32 v[42:43], v[2:3], s[8:9], v[38:39] op_sel_hi:[1,0,1]
	v_pk_fma_f32 v[2:3], v[2:3], s[8:9], v[38:39] op_sel_hi:[1,0,1] neg_lo:[1,0,0] neg_hi:[1,0,0]
	ds_write2_b64 v164, v[40:41], v[6:7] offset1:8
	v_mov_b32_e32 v6, v36
	v_mov_b32_e32 v7, v5
	ds_write_b64 v164, v[6:7] offset:128
	s_and_saveexec_b64 s[8:9], vcc
	s_cbranch_execz .LBB0_13
; %bb.12:
	v_mul_u32_u24_e32 v6, 24, v166
	v_or_b32_e32 v6, v6, v73
	v_lshl_add_u32 v32, v6, 3, v162
	v_mov_b32_e32 v6, v2
	v_mov_b32_e32 v7, v43
	ds_write2_b64 v32, v[0:1], v[6:7] offset1:8
	v_mov_b32_e32 v6, v42
	v_mov_b32_e32 v7, v3
	ds_write_b64 v32, v[6:7] offset:128
.LBB0_13:
	s_or_b64 exec, exec, s[8:9]
	s_waitcnt lgkmcnt(0)
	s_barrier
	s_and_saveexec_b64 s[8:9], s[2:3]
	s_xor_b64 s[2:3], exec, s[8:9]
	s_andn2_saveexec_b64 s[2:3], s[2:3]
	s_cbranch_execz .LBB0_15
; %bb.14:
	ds_read2_b64 v[8:11], v71 offset1:24
	ds_read2_b64 v[32:35], v71 offset0:192 offset1:216
	ds_read2_b64 v[0:3], v71 offset0:144 offset1:168
	;; [unrolled: 1-line block ×4, first 2 shown]
	ds_read_b64 v[78:79], v71 offset:1920
	s_waitcnt lgkmcnt(4)
	v_mov_b32_e32 v42, v32
	s_waitcnt lgkmcnt(3)
	v_mov_b32_e32 v43, v3
	;; [unrolled: 2-line block ×3, first 2 shown]
	v_mov_b32_e32 v37, v5
	s_waitcnt lgkmcnt(1)
	v_mov_b32_e32 v46, v38
	v_mov_b32_e32 v47, v11
	;; [unrolled: 1-line block ×5, first 2 shown]
.LBB0_15:
	s_or_b64 exec, exec, s[2:3]
	s_and_saveexec_b64 s[2:3], s[0:1]
	s_cbranch_execz .LBB0_17
; %bb.16:
	s_waitcnt lgkmcnt(0)
	v_pk_mul_f32 v[32:33], v[30:31], v[78:79] op_sel:[0,1]
	v_pk_mul_f32 v[44:45], v[28:29], v[34:35] op_sel:[0,1]
	v_pk_fma_f32 v[84:85], v[30:31], v[78:79], v[32:33] op_sel:[0,0,1] op_sel_hi:[1,1,0]
	v_pk_fma_f32 v[30:31], v[30:31], v[78:79], v[32:33] op_sel:[0,0,1] op_sel_hi:[1,0,0] neg_lo:[1,0,0] neg_hi:[1,0,0]
	v_pk_mul_f32 v[38:39], v[14:15], v[10:11] op_sel:[0,1]
	v_mov_b32_e32 v85, v31
	v_pk_fma_f32 v[30:31], v[28:29], v[34:35], v[44:45] op_sel:[0,0,1] op_sel_hi:[1,1,0]
	v_pk_fma_f32 v[28:29], v[28:29], v[34:35], v[44:45] op_sel:[0,0,1] op_sel_hi:[1,0,0] neg_lo:[1,0,0] neg_hi:[1,0,0]
	v_pk_mul_f32 v[50:51], v[26:27], v[2:3] op_sel:[0,1]
	v_mov_b32_e32 v31, v29
	;; [unrolled: 4-line block ×5, first 2 shown]
	v_pk_fma_f32 v[20:21], v[24:25], v[2:3], v[54:55] op_sel:[0,0,1] op_sel_hi:[1,1,0]
	v_pk_fma_f32 v[2:3], v[24:25], v[2:3], v[54:55] op_sel:[0,0,1] op_sel_hi:[1,0,0] neg_lo:[1,0,0] neg_hi:[1,0,0]
	v_pk_mul_f32 v[56:57], v[16:17], v[4:5] op_sel:[0,1]
	v_pk_mul_f32 v[82:83], v[18:19], v[0:1] op_sel:[0,1]
	v_mov_b32_e32 v21, v3
	v_pk_fma_f32 v[2:3], v[22:23], v[4:5], v[52:53] op_sel:[0,0,1] op_sel_hi:[1,1,0]
	v_pk_fma_f32 v[4:5], v[22:23], v[4:5], v[52:53] op_sel:[0,0,1] op_sel_hi:[1,0,0] neg_lo:[1,0,0] neg_hi:[1,0,0]
	v_pk_mul_f32 v[6:7], v[12:13], v[46:47] op_sel:[0,1]
	v_mov_b32_e32 v3, v5
	v_pk_fma_f32 v[4:5], v[18:19], v[0:1], v[82:83] op_sel:[0,0,1] op_sel_hi:[1,1,0]
	v_pk_fma_f32 v[0:1], v[18:19], v[0:1], v[82:83] op_sel:[0,0,1] op_sel_hi:[1,0,0] neg_lo:[1,0,0] neg_hi:[1,0,0]
	v_pk_add_f32 v[32:33], v[2:3], v[20:21] neg_lo:[0,1] neg_hi:[0,1]
	v_mov_b32_e32 v5, v1
	v_pk_fma_f32 v[0:1], v[16:17], v[36:37], v[56:57] op_sel:[0,0,1] op_sel_hi:[1,1,0]
	v_pk_fma_f32 v[16:17], v[16:17], v[36:37], v[56:57] op_sel:[0,0,1] op_sel_hi:[1,0,0] neg_lo:[1,0,0] neg_hi:[1,0,0]
	v_pk_add_f32 v[34:35], v[20:21], v[2:3]
	v_mov_b32_e32 v1, v17
	v_pk_fma_f32 v[16:17], v[12:13], v[10:11], v[6:7] op_sel:[0,0,1] op_sel_hi:[1,1,0]
	v_pk_fma_f32 v[6:7], v[12:13], v[10:11], v[6:7] op_sel:[0,0,1] op_sel_hi:[1,0,0] neg_lo:[1,0,0] neg_hi:[1,0,0]
	v_pk_add_f32 v[36:37], v[0:1], v[4:5] neg_lo:[0,1] neg_hi:[0,1]
	v_mov_b32_e32 v17, v7
	v_pk_add_f32 v[6:7], v[16:17], v[84:85] neg_lo:[0,1] neg_hi:[0,1]
	v_pk_add_f32 v[10:11], v[84:85], v[16:17]
	v_pk_add_f32 v[16:17], v[8:9], v[16:17]
	;; [unrolled: 1-line block ×4, first 2 shown]
	s_mov_b32 s10, 0xbf0a6770
	v_pk_add_f32 v[16:17], v[26:27], v[16:17]
	v_pk_add_f32 v[12:13], v[28:29], v[30:31] neg_lo:[0,1] neg_hi:[0,1]
	v_pk_add_f32 v[2:3], v[2:3], v[16:17]
	s_mov_b32 s0, 0x3f575c64
	v_pk_add_f32 v[0:1], v[0:1], v[2:3]
	v_pk_mul_f32 v[40:41], v[6:7], s[10:11] op_sel_hi:[1,0]
	v_pk_add_f32 v[0:1], v[4:5], v[0:1]
	s_mov_b32 s26, 0xbf68dda4
	v_pk_add_f32 v[0:1], v[20:21], v[0:1]
	v_pk_add_f32 v[18:19], v[30:31], v[28:29]
	v_pk_add_f32 v[0:1], v[14:15], v[0:1]
	v_pk_fma_f32 v[42:43], v[10:11], s[0:1], v[40:41] op_sel:[0,0,1] op_sel_hi:[1,0,0]
	v_pk_add_f32 v[0:1], v[30:31], v[0:1]
	v_pk_fma_f32 v[40:41], v[10:11], s[0:1], v[40:41] op_sel:[0,0,1] op_sel_hi:[1,0,0] neg_lo:[0,0,1] neg_hi:[0,0,1]
	s_mov_b32 s8, 0x3ed4b147
	v_pk_mul_f32 v[46:47], v[12:13], s[26:27] op_sel_hi:[1,0]
	v_pk_add_f32 v[0:1], v[84:85], v[0:1]
	v_mov_b32_e32 v44, v42
	v_mov_b32_e32 v45, v41
	v_pk_fma_f32 v[48:49], v[18:19], s[8:9], v[46:47] op_sel:[0,0,1] op_sel_hi:[1,0,0]
	v_pk_fma_f32 v[46:47], v[18:19], s[8:9], v[46:47] op_sel:[0,0,1] op_sel_hi:[1,0,0] neg_lo:[0,0,1] neg_hi:[0,0,1]
	s_mov_b32 s20, 0xbf4178ce
	ds_write_b64 v71, v[0:1]
	v_pk_mul_f32 v[0:1], v[6:7], s[26:27] op_sel_hi:[1,0]
	v_pk_add_f32 v[22:23], v[26:27], v[14:15] neg_lo:[0,1] neg_hi:[0,1]
	v_pk_add_f32 v[24:25], v[14:15], v[26:27]
	v_pk_add_f32 v[44:45], v[8:9], v[44:45]
	v_mov_b32_e32 v50, v48
	v_mov_b32_e32 v51, v47
	s_mov_b32 s24, 0xbf7d64f0
	s_mov_b32 s18, 0xbf27a4f4
	v_pk_fma_f32 v[2:3], v[10:11], s[8:9], v[0:1] op_sel:[0,0,1] op_sel_hi:[1,0,0]
	v_pk_fma_f32 v[0:1], v[10:11], s[8:9], v[0:1] op_sel:[0,0,1] op_sel_hi:[1,0,0] neg_lo:[0,0,1] neg_hi:[0,0,1]
	v_pk_mul_f32 v[14:15], v[12:13], s[20:21] op_sel_hi:[1,0]
	v_pk_add_f32 v[44:45], v[50:51], v[44:45]
	s_mov_b32 s14, 0xbe11bafb
	v_pk_mul_f32 v[50:51], v[22:23], s[24:25] op_sel_hi:[1,0]
	v_mov_b32_e32 v4, v2
	v_mov_b32_e32 v5, v1
	v_pk_fma_f32 v[16:17], v[18:19], s[18:19], v[14:15] op_sel:[0,0,1] op_sel_hi:[1,0,0]
	v_pk_fma_f32 v[14:15], v[18:19], s[18:19], v[14:15] op_sel:[0,0,1] op_sel_hi:[1,0,0] neg_lo:[0,0,1] neg_hi:[0,0,1]
	v_pk_fma_f32 v[52:53], v[24:25], s[14:15], v[50:51] op_sel:[0,0,1] op_sel_hi:[1,0,0]
	v_pk_fma_f32 v[50:51], v[24:25], s[14:15], v[50:51] op_sel:[0,0,1] op_sel_hi:[1,0,0] neg_lo:[0,0,1] neg_hi:[0,0,1]
	v_pk_add_f32 v[4:5], v[8:9], v[4:5]
	v_mov_b32_e32 v20, v16
	v_mov_b32_e32 v21, v15
	s_mov_b32 s26, 0x3e903f40
	v_mov_b32_e32 v54, v52
	v_mov_b32_e32 v55, v51
	s_mov_b32 s16, 0xbf75a155
	v_pk_add_f32 v[4:5], v[20:21], v[4:5]
	v_pk_mul_f32 v[20:21], v[22:23], s[26:27] op_sel_hi:[1,0]
	v_pk_add_f32 v[44:45], v[54:55], v[44:45]
	v_pk_mul_f32 v[54:55], v[32:33], s[20:21] op_sel_hi:[1,0]
	v_pk_fma_f32 v[26:27], v[24:25], s[16:17], v[20:21] op_sel:[0,0,1] op_sel_hi:[1,0,0]
	v_pk_fma_f32 v[20:21], v[24:25], s[16:17], v[20:21] op_sel:[0,0,1] op_sel_hi:[1,0,0] neg_lo:[0,0,1] neg_hi:[0,0,1]
	v_pk_fma_f32 v[56:57], v[34:35], s[18:19], v[54:55] op_sel:[0,0,1] op_sel_hi:[1,0,0]
	v_pk_fma_f32 v[54:55], v[34:35], s[18:19], v[54:55] op_sel:[0,0,1] op_sel_hi:[1,0,0] neg_lo:[0,0,1] neg_hi:[0,0,1]
	v_mov_b32_e32 v28, v26
	v_mov_b32_e32 v29, v21
	s_mov_b32 s28, 0x3f7d64f0
	v_mov_b32_e32 v78, v56
	v_mov_b32_e32 v79, v55
	s_mov_b32 s22, 0xbe903f40
	v_pk_add_f32 v[4:5], v[28:29], v[4:5]
	v_pk_mul_f32 v[28:29], v[32:33], s[28:29] op_sel_hi:[1,0]
	v_pk_add_f32 v[44:45], v[78:79], v[44:45]
	v_pk_mul_f32 v[78:79], v[36:37], s[22:23] op_sel_hi:[1,0]
	v_pk_fma_f32 v[30:31], v[34:35], s[14:15], v[28:29] op_sel:[0,0,1] op_sel_hi:[1,0,0]
	v_pk_fma_f32 v[28:29], v[34:35], s[14:15], v[28:29] op_sel:[0,0,1] op_sel_hi:[1,0,0] neg_lo:[0,0,1] neg_hi:[0,0,1]
	v_pk_fma_f32 v[82:83], v[38:39], s[16:17], v[78:79] op_sel:[0,0,1] op_sel_hi:[1,0,0]
	v_pk_fma_f32 v[78:79], v[38:39], s[16:17], v[78:79] op_sel:[0,0,1] op_sel_hi:[1,0,0] neg_lo:[0,0,1] neg_hi:[0,0,1]
	v_mov_b32_e32 v84, v30
	v_mov_b32_e32 v85, v29
	s_mov_b32 s30, 0x3f0a6770
	v_mov_b32_e32 v86, v82
	v_mov_b32_e32 v87, v79
	v_pk_add_f32 v[4:5], v[84:85], v[4:5]
	v_pk_mul_f32 v[84:85], v[36:37], s[30:31] op_sel_hi:[1,0]
	v_pk_add_f32 v[44:45], v[86:87], v[44:45]
	v_pk_fma_f32 v[86:87], v[38:39], s[0:1], v[84:85] op_sel:[0,0,1] op_sel_hi:[1,0,0]
	v_pk_fma_f32 v[84:85], v[38:39], s[0:1], v[84:85] op_sel:[0,0,1] op_sel_hi:[1,0,0] neg_lo:[0,0,1] neg_hi:[0,0,1]
	v_mov_b32_e32 v88, v86
	v_mov_b32_e32 v89, v85
	v_pk_add_f32 v[4:5], v[88:89], v[4:5]
	ds_write2_b64 v80, v[44:45], v[4:5] offset0:24 offset1:48
	v_pk_mul_f32 v[4:5], v[6:7], s[24:25] op_sel_hi:[1,0]
	v_pk_mul_f32 v[90:91], v[12:13], s[26:27] op_sel_hi:[1,0]
	v_pk_fma_f32 v[44:45], v[10:11], s[14:15], v[4:5] op_sel:[0,0,1] op_sel_hi:[1,0,0]
	v_pk_fma_f32 v[4:5], v[10:11], s[14:15], v[4:5] op_sel:[0,0,1] op_sel_hi:[1,0,0] neg_lo:[0,0,1] neg_hi:[0,0,1]
	v_mov_b32_e32 v88, v44
	v_mov_b32_e32 v89, v5
	v_pk_fma_f32 v[92:93], v[18:19], s[16:17], v[90:91] op_sel:[0,0,1] op_sel_hi:[1,0,0]
	v_pk_fma_f32 v[90:91], v[18:19], s[16:17], v[90:91] op_sel:[0,0,1] op_sel_hi:[1,0,0] neg_lo:[0,0,1] neg_hi:[0,0,1]
	v_pk_add_f32 v[88:89], v[8:9], v[88:89]
	v_mov_b32_e32 v94, v92
	v_mov_b32_e32 v95, v91
	s_mov_b32 s26, 0x3f68dda4
	v_pk_add_f32 v[88:89], v[94:95], v[88:89]
	v_pk_mul_f32 v[94:95], v[22:23], s[26:27] op_sel_hi:[1,0]
	v_pk_mul_f32 v[108:109], v[12:13], s[30:31] op_sel_hi:[1,0]
	v_pk_fma_f32 v[96:97], v[24:25], s[8:9], v[94:95] op_sel:[0,0,1] op_sel_hi:[1,0,0]
	v_pk_fma_f32 v[94:95], v[24:25], s[8:9], v[94:95] op_sel:[0,0,1] op_sel_hi:[1,0,0] neg_lo:[0,0,1] neg_hi:[0,0,1]
	v_mov_b32_e32 v98, v96
	v_mov_b32_e32 v99, v95
	v_pk_add_f32 v[88:89], v[98:99], v[88:89]
	v_pk_mul_f32 v[98:99], v[32:33], s[10:11] op_sel_hi:[1,0]
	v_pk_fma_f32 v[120:121], v[18:19], s[0:1], v[108:109] op_sel:[0,0,1] op_sel_hi:[1,0,0]
	v_pk_fma_f32 v[100:101], v[34:35], s[0:1], v[98:99] op_sel:[0,0,1] op_sel_hi:[1,0,0]
	v_pk_fma_f32 v[98:99], v[34:35], s[0:1], v[98:99] op_sel:[0,0,1] op_sel_hi:[1,0,0] neg_lo:[0,0,1] neg_hi:[0,0,1]
	v_mov_b32_e32 v102, v100
	v_mov_b32_e32 v103, v99
	v_pk_add_f32 v[88:89], v[102:103], v[88:89]
	v_pk_mul_f32 v[102:103], v[36:37], s[20:21] op_sel_hi:[1,0]
	v_pk_fma_f32 v[108:109], v[18:19], s[0:1], v[108:109] op_sel:[0,0,1] op_sel_hi:[1,0,0] neg_lo:[0,0,1] neg_hi:[0,0,1]
	v_pk_fma_f32 v[104:105], v[38:39], s[18:19], v[102:103] op_sel:[0,0,1] op_sel_hi:[1,0,0]
	v_pk_fma_f32 v[102:103], v[38:39], s[18:19], v[102:103] op_sel:[0,0,1] op_sel_hi:[1,0,0] neg_lo:[0,0,1] neg_hi:[0,0,1]
	v_mov_b32_e32 v106, v104
	v_mov_b32_e32 v107, v103
	v_pk_add_f32 v[88:89], v[106:107], v[88:89]
	v_pk_mul_f32 v[106:107], v[6:7], s[22:23] op_sel_hi:[1,0]
	v_pk_mul_f32 v[110:111], v[22:23], s[20:21] op_sel_hi:[1,0]
	v_pk_fma_f32 v[116:117], v[10:11], s[16:17], v[106:107] op_sel:[0,0,1] op_sel_hi:[1,0,0]
	v_pk_fma_f32 v[106:107], v[10:11], s[16:17], v[106:107] op_sel:[0,0,1] op_sel_hi:[1,0,0] neg_lo:[0,0,1] neg_hi:[0,0,1]
	v_mov_b32_e32 v118, v116
	v_mov_b32_e32 v119, v107
	v_pk_add_f32 v[118:119], v[8:9], v[118:119]
	v_mov_b32_e32 v122, v120
	v_mov_b32_e32 v123, v109
	v_pk_add_f32 v[118:119], v[122:123], v[118:119]
	v_pk_fma_f32 v[122:123], v[24:25], s[18:19], v[110:111] op_sel:[0,0,1] op_sel_hi:[1,0,0]
	v_pk_fma_f32 v[110:111], v[24:25], s[18:19], v[110:111] op_sel:[0,0,1] op_sel_hi:[1,0,0] neg_lo:[0,0,1] neg_hi:[0,0,1]
	v_pk_mul_f32 v[112:113], v[32:33], s[26:27] op_sel_hi:[1,0]
	v_mov_b32_e32 v124, v122
	v_mov_b32_e32 v125, v111
	;; [unrolled: 1-line block ×3, first 2 shown]
	v_pk_add_f32 v[118:119], v[124:125], v[118:119]
	v_pk_fma_f32 v[124:125], v[34:35], s[8:9], v[112:113] op_sel:[0,0,1] op_sel_hi:[1,0,0]
	v_pk_fma_f32 v[112:113], v[34:35], s[8:9], v[112:113] op_sel:[0,0,1] op_sel_hi:[1,0,0] neg_lo:[0,0,1] neg_hi:[0,0,1]
	v_pk_add_f32 v[106:107], v[8:9], v[106:107]
	v_mov_b32_e32 v109, v121
	v_pk_mul_f32 v[114:115], v[36:37], s[24:25] op_sel_hi:[1,0]
	v_mov_b32_e32 v126, v124
	v_mov_b32_e32 v127, v113
	v_pk_add_f32 v[106:107], v[108:109], v[106:107]
	v_mov_b32_e32 v111, v123
	v_pk_add_f32 v[118:119], v[126:127], v[118:119]
	v_pk_fma_f32 v[126:127], v[38:39], s[14:15], v[114:115] op_sel:[0,0,1] op_sel_hi:[1,0,0]
	v_pk_fma_f32 v[114:115], v[38:39], s[14:15], v[114:115] op_sel:[0,0,1] op_sel_hi:[1,0,0] neg_lo:[0,0,1] neg_hi:[0,0,1]
	v_pk_add_f32 v[106:107], v[110:111], v[106:107]
	v_mov_b32_e32 v113, v125
	v_mov_b32_e32 v128, v126
	;; [unrolled: 1-line block ×3, first 2 shown]
	v_pk_add_f32 v[106:107], v[112:113], v[106:107]
	v_mov_b32_e32 v115, v127
	v_pk_add_f32 v[118:119], v[128:129], v[118:119]
	v_pk_add_f32 v[106:107], v[114:115], v[106:107]
	v_pk_mul_f32 v[6:7], v[6:7], s[20:21] op_sel_hi:[1,0]
	ds_write2_b64 v80, v[118:119], v[106:107] offset0:120 offset1:144
	v_pk_mul_f32 v[12:13], v[12:13], s[28:29] op_sel_hi:[1,0]
	v_pk_fma_f32 v[106:107], v[10:11], s[18:19], v[6:7] op_sel:[0,0,1] op_sel_hi:[1,0,0] neg_lo:[0,0,1] neg_hi:[0,0,1]
	v_pk_fma_f32 v[6:7], v[10:11], s[18:19], v[6:7] op_sel:[0,0,1] op_sel_hi:[1,0,0]
	v_mov_b32_e32 v10, v106
	v_mov_b32_e32 v11, v7
	v_pk_fma_f32 v[108:109], v[18:19], s[14:15], v[12:13] op_sel:[0,0,1] op_sel_hi:[1,0,0] neg_lo:[0,0,1] neg_hi:[0,0,1]
	v_pk_fma_f32 v[12:13], v[18:19], s[14:15], v[12:13] op_sel:[0,0,1] op_sel_hi:[1,0,0]
	v_pk_mul_f32 v[22:23], v[22:23], s[10:11] op_sel_hi:[1,0]
	v_pk_add_f32 v[10:11], v[8:9], v[10:11]
	v_mov_b32_e32 v18, v108
	v_mov_b32_e32 v19, v13
	v_pk_add_f32 v[10:11], v[18:19], v[10:11]
	v_pk_fma_f32 v[18:19], v[24:25], s[0:1], v[22:23] op_sel:[0,0,1] op_sel_hi:[1,0,0] neg_lo:[0,0,1] neg_hi:[0,0,1]
	v_pk_fma_f32 v[22:23], v[24:25], s[0:1], v[22:23] op_sel:[0,0,1] op_sel_hi:[1,0,0]
	v_pk_mul_f32 v[32:33], v[32:33], s[22:23] op_sel_hi:[1,0]
	v_mov_b32_e32 v24, v18
	v_mov_b32_e32 v25, v23
	;; [unrolled: 1-line block ×6, first 2 shown]
	v_pk_add_f32 v[10:11], v[24:25], v[10:11]
	v_pk_fma_f32 v[24:25], v[34:35], s[16:17], v[32:33] op_sel:[0,0,1] op_sel_hi:[1,0,0] neg_lo:[0,0,1] neg_hi:[0,0,1]
	v_pk_fma_f32 v[32:33], v[34:35], s[16:17], v[32:33] op_sel:[0,0,1] op_sel_hi:[1,0,0]
	v_pk_add_f32 v[6:7], v[8:9], v[6:7]
	v_mov_b32_e32 v13, v109
	v_pk_add_f32 v[4:5], v[8:9], v[4:5]
	v_mov_b32_e32 v91, v93
	;; [unrolled: 2-line block ×4, first 2 shown]
	v_pk_mul_f32 v[36:37], v[36:37], s[26:27] op_sel_hi:[1,0]
	v_mov_b32_e32 v34, v24
	v_mov_b32_e32 v35, v33
	v_pk_add_f32 v[6:7], v[12:13], v[6:7]
	v_mov_b32_e32 v23, v19
	v_pk_add_f32 v[4:5], v[90:91], v[4:5]
	;; [unrolled: 2-line block ×5, first 2 shown]
	v_pk_fma_f32 v[34:35], v[38:39], s[8:9], v[36:37] op_sel:[0,0,1] op_sel_hi:[1,0,0] neg_lo:[0,0,1] neg_hi:[0,0,1]
	v_pk_fma_f32 v[36:37], v[38:39], s[8:9], v[36:37] op_sel:[0,0,1] op_sel_hi:[1,0,0]
	v_pk_add_f32 v[6:7], v[22:23], v[6:7]
	v_mov_b32_e32 v33, v25
	v_pk_add_f32 v[4:5], v[94:95], v[4:5]
	v_mov_b32_e32 v99, v101
	;; [unrolled: 2-line block ×4, first 2 shown]
	v_mov_b32_e32 v38, v34
	v_mov_b32_e32 v39, v37
	v_pk_add_f32 v[6:7], v[32:33], v[6:7]
	v_mov_b32_e32 v37, v35
	v_pk_add_f32 v[4:5], v[98:99], v[4:5]
	;; [unrolled: 2-line block ×5, first 2 shown]
	v_pk_add_f32 v[6:7], v[36:37], v[6:7]
	v_pk_add_f32 v[4:5], v[102:103], v[4:5]
	;; [unrolled: 1-line block ×4, first 2 shown]
	ds_write2_b64 v80, v[88:89], v[6:7] offset0:72 offset1:96
	ds_write2_b64 v80, v[10:11], v[4:5] offset0:168 offset1:192
	;; [unrolled: 1-line block ×3, first 2 shown]
.LBB0_17:
	s_or_b64 exec, exec, s[2:3]
	s_waitcnt lgkmcnt(0)
	s_barrier
	ds_read2_b64 v[0:3], v71 offset1:33
	v_mad_u64_u32 v[6:7], s[0:1], s6, v70, 0
	v_mov_b32_e32 v8, v7
	v_mad_u64_u32 v[8:9], s[0:1], s7, v70, v[8:9]
	v_mov_b32_e32 v7, v8
	s_waitcnt lgkmcnt(0)
	v_mul_f32_e32 v8, v77, v1
	v_fmac_f32_e32 v8, v76, v0
	v_mul_f32_e32 v0, v77, v0
	s_mov_b32 s0, 0xf07c1f08
	v_fma_f32 v0, v76, v1, -v0
	v_cvt_f64_f32_e32 v[8:9], v8
	s_mov_b32 s1, 0x3f6f07c1
	v_cvt_f64_f32_e32 v[0:1], v0
	v_mul_f64 v[8:9], v[8:9], s[0:1]
	v_mul_f64 v[0:1], v[0:1], s[0:1]
	v_cvt_f32_f64_e32 v8, v[8:9]
	v_cvt_f32_f64_e32 v9, v[0:1]
	v_mad_u64_u32 v[0:1], s[2:3], s4, v72, 0
	v_mov_b32_e32 v10, v1
	v_mov_b32_e32 v4, s12
	;; [unrolled: 1-line block ×3, first 2 shown]
	v_mad_u64_u32 v[10:11], s[2:3], s5, v72, v[10:11]
	v_mov_b32_e32 v1, v10
	v_lshl_add_u64 v[4:5], v[6:7], 3, v[4:5]
	v_lshl_add_u64 v[0:1], v[0:1], 3, v[4:5]
	v_mul_f32_e32 v4, v75, v3
	v_mov_b32_e32 v10, 0x108
	global_store_dwordx2 v[0:1], v[8:9], off
	v_fmac_f32_e32 v4, v74, v2
	v_mul_f32_e32 v2, v75, v2
	v_mad_u64_u32 v[6:7], s[2:3], s4, v10, v[0:1]
	ds_read_b64 v[0:1], v80 offset:528
	v_fma_f32 v2, v74, v3, -v2
	v_cvt_f64_f32_e32 v[4:5], v4
	v_cvt_f64_f32_e32 v[2:3], v2
	v_mul_f64 v[4:5], v[4:5], s[0:1]
	v_mul_f64 v[2:3], v[2:3], s[0:1]
	s_mulk_i32 s5, 0x108
	v_cvt_f32_f64_e32 v4, v[4:5]
	v_cvt_f32_f64_e32 v5, v[2:3]
	v_add_u32_e32 v7, s5, v7
	global_store_dwordx2 v[6:7], v[4:5], off
	ds_read_b64 v[4:5], v71 offset:1848
	s_waitcnt lgkmcnt(1)
	v_mul_f32_e32 v2, v67, v1
	v_fmac_f32_e32 v2, v66, v0
	v_mul_f32_e32 v0, v67, v0
	v_fma_f32 v0, v66, v1, -v0
	v_cvt_f64_f32_e32 v[2:3], v2
	v_cvt_f64_f32_e32 v[0:1], v0
	v_mul_f64 v[2:3], v[2:3], s[0:1]
	v_mul_f64 v[0:1], v[0:1], s[0:1]
	v_cvt_f32_f64_e32 v8, v[2:3]
	v_cvt_f32_f64_e32 v9, v[0:1]
	ds_read2_b64 v[0:3], v71 offset0:99 offset1:132
	v_mad_u64_u32 v[6:7], s[2:3], s4, v10, v[6:7]
	v_add_u32_e32 v7, s5, v7
	global_store_dwordx2 v[6:7], v[8:9], off
	s_waitcnt lgkmcnt(0)
	v_mul_f32_e32 v8, v59, v1
	v_fmac_f32_e32 v8, v58, v0
	v_mul_f32_e32 v0, v59, v0
	v_fma_f32 v0, v58, v1, -v0
	v_cvt_f64_f32_e32 v[8:9], v8
	v_cvt_f64_f32_e32 v[0:1], v0
	v_mul_f64 v[8:9], v[8:9], s[0:1]
	v_mul_f64 v[0:1], v[0:1], s[0:1]
	v_cvt_f32_f64_e32 v8, v[8:9]
	v_cvt_f32_f64_e32 v9, v[0:1]
	v_mul_f32_e32 v0, v69, v3
	v_fmac_f32_e32 v0, v68, v2
	v_mad_u64_u32 v[6:7], s[2:3], s4, v10, v[6:7]
	v_cvt_f64_f32_e32 v[0:1], v0
	v_add_u32_e32 v7, s5, v7
	v_mul_f64 v[0:1], v[0:1], s[0:1]
	global_store_dwordx2 v[6:7], v[8:9], off
	v_cvt_f32_f64_e32 v8, v[0:1]
	v_mul_f32_e32 v0, v69, v2
	v_fma_f32 v0, v68, v3, -v0
	v_cvt_f64_f32_e32 v[0:1], v0
	v_mul_f64 v[0:1], v[0:1], s[0:1]
	v_cvt_f32_f64_e32 v9, v[0:1]
	ds_read2_b64 v[0:3], v71 offset0:165 offset1:198
	v_mad_u64_u32 v[6:7], s[2:3], s4, v10, v[6:7]
	v_add_u32_e32 v7, s5, v7
	global_store_dwordx2 v[6:7], v[8:9], off
	s_waitcnt lgkmcnt(0)
	v_mul_f32_e32 v8, v61, v1
	v_fmac_f32_e32 v8, v60, v0
	v_mul_f32_e32 v0, v61, v0
	v_fma_f32 v0, v60, v1, -v0
	v_cvt_f64_f32_e32 v[8:9], v8
	v_cvt_f64_f32_e32 v[0:1], v0
	v_mul_f64 v[8:9], v[8:9], s[0:1]
	v_mul_f64 v[0:1], v[0:1], s[0:1]
	v_cvt_f32_f64_e32 v8, v[8:9]
	v_cvt_f32_f64_e32 v9, v[0:1]
	v_mad_u64_u32 v[0:1], s[2:3], s4, v10, v[6:7]
	v_mul_f32_e32 v6, v65, v3
	v_fmac_f32_e32 v6, v64, v2
	v_mul_f32_e32 v2, v65, v2
	v_fma_f32 v2, v64, v3, -v2
	v_cvt_f64_f32_e32 v[6:7], v6
	v_cvt_f64_f32_e32 v[2:3], v2
	v_mul_f64 v[6:7], v[6:7], s[0:1]
	v_mul_f64 v[2:3], v[2:3], s[0:1]
	v_cvt_f32_f64_e32 v6, v[6:7]
	v_cvt_f32_f64_e32 v7, v[2:3]
	v_mul_f32_e32 v2, v63, v5
	v_fmac_f32_e32 v2, v62, v4
	v_cvt_f64_f32_e32 v[2:3], v2
	v_mul_f64 v[2:3], v[2:3], s[0:1]
	v_add_u32_e32 v1, s5, v1
	v_cvt_f32_f64_e32 v2, v[2:3]
	v_mul_f32_e32 v3, v63, v4
	global_store_dwordx2 v[0:1], v[8:9], off
	v_mad_u64_u32 v[0:1], s[2:3], s4, v10, v[0:1]
	v_fma_f32 v3, v62, v5, -v3
	v_add_u32_e32 v1, s5, v1
	v_cvt_f64_f32_e32 v[4:5], v3
	global_store_dwordx2 v[0:1], v[6:7], off
	v_mul_f64 v[4:5], v[4:5], s[0:1]
	v_mad_u64_u32 v[0:1], s[0:1], s4, v10, v[0:1]
	v_cvt_f32_f64_e32 v3, v[4:5]
	v_add_u32_e32 v1, s5, v1
	global_store_dwordx2 v[0:1], v[2:3], off
.LBB0_18:
	s_endpgm
	.section	.rodata,"a",@progbits
	.p2align	6, 0x0
	.amdhsa_kernel bluestein_single_back_len264_dim1_sp_op_CI_CI
		.amdhsa_group_segment_fixed_size 14784
		.amdhsa_private_segment_fixed_size 0
		.amdhsa_kernarg_size 104
		.amdhsa_user_sgpr_count 2
		.amdhsa_user_sgpr_dispatch_ptr 0
		.amdhsa_user_sgpr_queue_ptr 0
		.amdhsa_user_sgpr_kernarg_segment_ptr 1
		.amdhsa_user_sgpr_dispatch_id 0
		.amdhsa_user_sgpr_kernarg_preload_length 0
		.amdhsa_user_sgpr_kernarg_preload_offset 0
		.amdhsa_user_sgpr_private_segment_size 0
		.amdhsa_uses_dynamic_stack 0
		.amdhsa_enable_private_segment 0
		.amdhsa_system_sgpr_workgroup_id_x 1
		.amdhsa_system_sgpr_workgroup_id_y 0
		.amdhsa_system_sgpr_workgroup_id_z 0
		.amdhsa_system_sgpr_workgroup_info 0
		.amdhsa_system_vgpr_workitem_id 0
		.amdhsa_next_free_vgpr 170
		.amdhsa_next_free_sgpr 40
		.amdhsa_accum_offset 172
		.amdhsa_reserve_vcc 1
		.amdhsa_float_round_mode_32 0
		.amdhsa_float_round_mode_16_64 0
		.amdhsa_float_denorm_mode_32 3
		.amdhsa_float_denorm_mode_16_64 3
		.amdhsa_dx10_clamp 1
		.amdhsa_ieee_mode 1
		.amdhsa_fp16_overflow 0
		.amdhsa_tg_split 0
		.amdhsa_exception_fp_ieee_invalid_op 0
		.amdhsa_exception_fp_denorm_src 0
		.amdhsa_exception_fp_ieee_div_zero 0
		.amdhsa_exception_fp_ieee_overflow 0
		.amdhsa_exception_fp_ieee_underflow 0
		.amdhsa_exception_fp_ieee_inexact 0
		.amdhsa_exception_int_div_zero 0
	.end_amdhsa_kernel
	.text
.Lfunc_end0:
	.size	bluestein_single_back_len264_dim1_sp_op_CI_CI, .Lfunc_end0-bluestein_single_back_len264_dim1_sp_op_CI_CI
                                        ; -- End function
	.section	.AMDGPU.csdata,"",@progbits
; Kernel info:
; codeLenInByte = 8196
; NumSgprs: 46
; NumVgprs: 170
; NumAgprs: 0
; TotalNumVgprs: 170
; ScratchSize: 0
; MemoryBound: 0
; FloatMode: 240
; IeeeMode: 1
; LDSByteSize: 14784 bytes/workgroup (compile time only)
; SGPRBlocks: 5
; VGPRBlocks: 21
; NumSGPRsForWavesPerEU: 46
; NumVGPRsForWavesPerEU: 170
; AccumOffset: 172
; Occupancy: 2
; WaveLimiterHint : 1
; COMPUTE_PGM_RSRC2:SCRATCH_EN: 0
; COMPUTE_PGM_RSRC2:USER_SGPR: 2
; COMPUTE_PGM_RSRC2:TRAP_HANDLER: 0
; COMPUTE_PGM_RSRC2:TGID_X_EN: 1
; COMPUTE_PGM_RSRC2:TGID_Y_EN: 0
; COMPUTE_PGM_RSRC2:TGID_Z_EN: 0
; COMPUTE_PGM_RSRC2:TIDIG_COMP_CNT: 0
; COMPUTE_PGM_RSRC3_GFX90A:ACCUM_OFFSET: 42
; COMPUTE_PGM_RSRC3_GFX90A:TG_SPLIT: 0
	.text
	.p2alignl 6, 3212836864
	.fill 256, 4, 3212836864
	.type	__hip_cuid_8038e6aa925fe22b,@object ; @__hip_cuid_8038e6aa925fe22b
	.section	.bss,"aw",@nobits
	.globl	__hip_cuid_8038e6aa925fe22b
__hip_cuid_8038e6aa925fe22b:
	.byte	0                               ; 0x0
	.size	__hip_cuid_8038e6aa925fe22b, 1

	.ident	"AMD clang version 19.0.0git (https://github.com/RadeonOpenCompute/llvm-project roc-6.4.0 25133 c7fe45cf4b819c5991fe208aaa96edf142730f1d)"
	.section	".note.GNU-stack","",@progbits
	.addrsig
	.addrsig_sym __hip_cuid_8038e6aa925fe22b
	.amdgpu_metadata
---
amdhsa.kernels:
  - .agpr_count:     0
    .args:
      - .actual_access:  read_only
        .address_space:  global
        .offset:         0
        .size:           8
        .value_kind:     global_buffer
      - .actual_access:  read_only
        .address_space:  global
        .offset:         8
        .size:           8
        .value_kind:     global_buffer
      - .actual_access:  read_only
        .address_space:  global
        .offset:         16
        .size:           8
        .value_kind:     global_buffer
      - .actual_access:  read_only
        .address_space:  global
        .offset:         24
        .size:           8
        .value_kind:     global_buffer
      - .actual_access:  read_only
        .address_space:  global
        .offset:         32
        .size:           8
        .value_kind:     global_buffer
      - .offset:         40
        .size:           8
        .value_kind:     by_value
      - .address_space:  global
        .offset:         48
        .size:           8
        .value_kind:     global_buffer
      - .address_space:  global
        .offset:         56
        .size:           8
        .value_kind:     global_buffer
      - .address_space:  global
        .offset:         64
        .size:           8
        .value_kind:     global_buffer
      - .address_space:  global
        .offset:         72
        .size:           8
        .value_kind:     global_buffer
      - .offset:         80
        .size:           4
        .value_kind:     by_value
      - .address_space:  global
        .offset:         88
        .size:           8
        .value_kind:     global_buffer
      - .address_space:  global
        .offset:         96
        .size:           8
        .value_kind:     global_buffer
    .group_segment_fixed_size: 14784
    .kernarg_segment_align: 8
    .kernarg_segment_size: 104
    .language:       OpenCL C
    .language_version:
      - 2
      - 0
    .max_flat_workgroup_size: 231
    .name:           bluestein_single_back_len264_dim1_sp_op_CI_CI
    .private_segment_fixed_size: 0
    .sgpr_count:     46
    .sgpr_spill_count: 0
    .symbol:         bluestein_single_back_len264_dim1_sp_op_CI_CI.kd
    .uniform_work_group_size: 1
    .uses_dynamic_stack: false
    .vgpr_count:     170
    .vgpr_spill_count: 0
    .wavefront_size: 64
amdhsa.target:   amdgcn-amd-amdhsa--gfx950
amdhsa.version:
  - 1
  - 2
...

	.end_amdgpu_metadata
